;; amdgpu-corpus repo=ROCm/rocFFT kind=compiled arch=gfx1030 opt=O3
	.text
	.amdgcn_target "amdgcn-amd-amdhsa--gfx1030"
	.amdhsa_code_object_version 6
	.protected	bluestein_single_fwd_len1760_dim1_half_op_CI_CI ; -- Begin function bluestein_single_fwd_len1760_dim1_half_op_CI_CI
	.globl	bluestein_single_fwd_len1760_dim1_half_op_CI_CI
	.p2align	8
	.type	bluestein_single_fwd_len1760_dim1_half_op_CI_CI,@function
bluestein_single_fwd_len1760_dim1_half_op_CI_CI: ; @bluestein_single_fwd_len1760_dim1_half_op_CI_CI
; %bb.0:
	s_load_dwordx4 s[12:15], s[4:5], 0x28
	v_mul_u32_u24_e32 v1, 0x175, v0
	v_mov_b32_e32 v17, 0
	s_mov_b32 s0, exec_lo
	v_lshrrev_b32_e32 v1, 16, v1
	v_add_nc_u32_e32 v16, s6, v1
	s_waitcnt lgkmcnt(0)
	v_cmpx_gt_u64_e64 s[12:13], v[16:17]
	s_cbranch_execz .LBB0_10
; %bb.1:
	s_clause 0x1
	s_load_dwordx4 s[8:11], s[4:5], 0x18
	s_load_dwordx4 s[0:3], s[4:5], 0x0
	v_mul_lo_u16 v1, 0xb0, v1
	s_load_dwordx2 s[4:5], s[4:5], 0x38
                                        ; implicit-def: $vgpr86
                                        ; implicit-def: $vgpr87
	v_sub_nc_u16 v0, v0, v1
	v_and_b32_e32 v37, 0xffff, v0
	v_lshlrev_b32_e32 v39, 2, v37
	v_add_co_u32 v63, null, 0xb0, v37
	s_waitcnt lgkmcnt(0)
	s_load_dwordx4 s[16:19], s[8:9], 0x0
	v_lshlrev_b32_e32 v43, 3, v37
	v_add_co_u32 v13, s6, s0, v39
	v_add_co_ci_u32_e64 v14, null, s1, 0, s6
	v_lshlrev_b32_e32 v28, 3, v63
	s_waitcnt lgkmcnt(0)
	v_mad_u64_u32 v[1:2], null, s18, v16, 0
	v_mad_u64_u32 v[3:4], null, s16, v37, 0
	s_mul_i32 s6, s17, 0xdc0
	s_mul_hi_u32 s7, s16, 0xdc0
	s_mul_i32 s8, s16, 0xdc0
	s_add_i32 s7, s7, s6
	s_mul_hi_u32 s12, s16, 0xfffff500
	s_mul_i32 s9, s17, 0xfffff500
	v_mad_u64_u32 v[5:6], null, s19, v16, v[2:3]
	v_add_co_u32 v6, vcc_lo, 0x800, v13
	v_add_co_ci_u32_e32 v7, vcc_lo, 0, v14, vcc_lo
	s_mul_i32 s13, s16, 0xfffff500
	s_sub_i32 s6, s12, s16
	v_mad_u64_u32 v[8:9], null, s17, v37, v[4:5]
	v_mov_b32_e32 v2, v5
	v_add_co_u32 v9, vcc_lo, 0x1000, v13
	v_add_co_ci_u32_e32 v10, vcc_lo, 0, v14, vcc_lo
	v_lshlrev_b64 v[1:2], 2, v[1:2]
	v_mov_b32_e32 v4, v8
	s_clause 0x4
	global_load_dword v40, v39, s[0:1]
	global_load_dword v36, v39, s[0:1] offset:704
	global_load_dword v34, v39, s[0:1] offset:1408
	global_load_dword v38, v[6:7], off offset:1472
	global_load_dword v35, v[9:10], off offset:128
	s_add_i32 s6, s6, s9
	global_load_dword v33, v[9:10], off offset:832
	v_lshlrev_b64 v[3:4], 2, v[3:4]
	v_add_co_u32 v1, vcc_lo, s14, v1
	v_add_co_ci_u32_e32 v2, vcc_lo, s15, v2, vcc_lo
	v_add_co_u32 v1, vcc_lo, v1, v3
	v_add_co_ci_u32_e32 v2, vcc_lo, v2, v4, vcc_lo
	global_load_dword v5, v[1:2], off
	v_add_co_u32 v1, vcc_lo, v1, s8
	v_add_co_ci_u32_e32 v2, vcc_lo, s7, v2, vcc_lo
	v_add_co_u32 v3, vcc_lo, v1, s13
	v_add_co_ci_u32_e32 v4, vcc_lo, s6, v2, vcc_lo
	s_clause 0x1
	global_load_dword v8, v[1:2], off
	global_load_dword v15, v[3:4], off
	v_add_co_u32 v1, vcc_lo, v3, s8
	v_add_co_ci_u32_e32 v2, vcc_lo, s7, v4, vcc_lo
	v_add_co_u32 v3, vcc_lo, v1, s13
	v_add_co_ci_u32_e32 v4, vcc_lo, s6, v2, vcc_lo
	s_clause 0x1
	global_load_dword v17, v[1:2], off
	global_load_dword v18, v[3:4], off
	v_add_co_u32 v1, vcc_lo, v3, s8
	v_add_co_ci_u32_e32 v2, vcc_lo, s7, v4, vcc_lo
	v_add_co_u32 v3, vcc_lo, v1, s13
	v_add_co_ci_u32_e32 v4, vcc_lo, s6, v2, vcc_lo
	global_load_dword v19, v[1:2], off
	v_add_co_u32 v11, vcc_lo, v3, s8
	v_add_co_ci_u32_e32 v12, vcc_lo, s7, v4, vcc_lo
	v_add_co_u32 v1, vcc_lo, v11, s13
	v_add_co_ci_u32_e32 v2, vcc_lo, s6, v12, vcc_lo
	global_load_dword v20, v[3:4], off
	s_clause 0x1
	global_load_dword v32, v[6:7], off offset:64
	global_load_dword v31, v[9:10], off offset:1536
	global_load_dword v9, v[11:12], off
	global_load_dword v10, v[1:2], off
	v_add_co_u32 v1, vcc_lo, v1, s8
	v_add_co_ci_u32_e32 v2, vcc_lo, s7, v2, vcc_lo
	v_add_co_u32 v3, vcc_lo, 0x1800, v13
	v_add_co_ci_u32_e32 v4, vcc_lo, 0, v14, vcc_lo
	global_load_dword v11, v[1:2], off
	s_clause 0x1
	global_load_dword v30, v[6:7], off offset:768
	global_load_dword v29, v[3:4], off offset:192
	v_add_nc_u32_e32 v3, 0x1000, v39
	v_add_nc_u32_e32 v1, 0xa00, v39
	;; [unrolled: 1-line block ×4, first 2 shown]
	s_load_dwordx4 s[8:11], s[10:11], 0x0
	v_cmp_gt_u16_e32 vcc_lo, 0xa0, v0
	s_waitcnt vmcnt(13)
	v_lshrrev_b32_e32 v6, 16, v5
	v_mul_f16_sdwa v7, v40, v5 dst_sel:DWORD dst_unused:UNUSED_PAD src0_sel:WORD_1 src1_sel:DWORD
	v_mul_f16_sdwa v12, v40, v6 dst_sel:DWORD dst_unused:UNUSED_PAD src0_sel:WORD_1 src1_sel:DWORD
	v_fma_f16 v6, v40, v6, -v7
	s_waitcnt vmcnt(12)
	v_lshrrev_b32_e32 v13, 16, v8
	v_mul_f16_sdwa v14, v38, v8 dst_sel:DWORD dst_unused:UNUSED_PAD src0_sel:WORD_1 src1_sel:DWORD
	v_fmac_f16_e32 v12, v40, v5
	s_waitcnt vmcnt(11)
	v_lshrrev_b32_e32 v7, 16, v15
	v_mul_f16_sdwa v5, v38, v13 dst_sel:DWORD dst_unused:UNUSED_PAD src0_sel:WORD_1 src1_sel:DWORD
	v_fma_f16 v13, v38, v13, -v14
	v_mul_f16_sdwa v14, v36, v15 dst_sel:DWORD dst_unused:UNUSED_PAD src0_sel:WORD_1 src1_sel:DWORD
	v_pack_b32_f16 v6, v12, v6
	v_fmac_f16_e32 v5, v38, v8
	v_mul_f16_sdwa v8, v36, v7 dst_sel:DWORD dst_unused:UNUSED_PAD src0_sel:WORD_1 src1_sel:DWORD
	v_fma_f16 v7, v36, v7, -v14
	s_waitcnt vmcnt(10)
	v_lshrrev_b32_e32 v12, 16, v17
	v_mul_f16_sdwa v21, v35, v17 dst_sel:DWORD dst_unused:UNUSED_PAD src0_sel:WORD_1 src1_sel:DWORD
	v_pack_b32_f16 v5, v5, v13
	v_fmac_f16_e32 v8, v36, v15
	s_waitcnt vmcnt(9)
	v_lshrrev_b32_e32 v14, 16, v18
	v_mul_f16_sdwa v13, v35, v12 dst_sel:DWORD dst_unused:UNUSED_PAD src0_sel:WORD_1 src1_sel:DWORD
	v_mul_f16_sdwa v15, v34, v18 dst_sel:DWORD dst_unused:UNUSED_PAD src0_sel:WORD_1 src1_sel:DWORD
	v_fma_f16 v12, v35, v12, -v21
	ds_write_b32 v39, v5 offset:3520
	v_pack_b32_f16 v5, v8, v7
	v_fmac_f16_e32 v13, v35, v17
	v_mul_f16_sdwa v7, v34, v14 dst_sel:DWORD dst_unused:UNUSED_PAD src0_sel:WORD_1 src1_sel:DWORD
	v_fma_f16 v8, v34, v14, -v15
	s_waitcnt vmcnt(8)
	v_lshrrev_b32_e32 v14, 16, v19
	v_mul_f16_sdwa v15, v33, v19 dst_sel:DWORD dst_unused:UNUSED_PAD src0_sel:WORD_1 src1_sel:DWORD
	v_pack_b32_f16 v12, v13, v12
	v_fmac_f16_e32 v7, v34, v18
	v_mul_f16_sdwa v17, v33, v14 dst_sel:DWORD dst_unused:UNUSED_PAD src0_sel:WORD_1 src1_sel:DWORD
	s_waitcnt vmcnt(7)
	v_lshrrev_b32_e32 v13, 16, v20
	v_fma_f16 v14, v33, v14, -v15
	s_waitcnt vmcnt(6)
	v_mul_f16_sdwa v15, v32, v20 dst_sel:DWORD dst_unused:UNUSED_PAD src0_sel:WORD_1 src1_sel:DWORD
	v_pack_b32_f16 v7, v7, v8
	v_fmac_f16_e32 v17, v33, v19
	v_mul_f16_sdwa v8, v32, v13 dst_sel:DWORD dst_unused:UNUSED_PAD src0_sel:WORD_1 src1_sel:DWORD
	s_waitcnt vmcnt(4)
	v_lshrrev_b32_e32 v18, 16, v9
	v_fma_f16 v13, v32, v13, -v15
	v_mul_f16_sdwa v15, v31, v9 dst_sel:DWORD dst_unused:UNUSED_PAD src0_sel:WORD_1 src1_sel:DWORD
	s_waitcnt vmcnt(3)
	v_lshrrev_b32_e32 v19, 16, v10
	v_fmac_f16_e32 v8, v32, v20
	v_mul_f16_sdwa v20, v31, v18 dst_sel:DWORD dst_unused:UNUSED_PAD src0_sel:WORD_1 src1_sel:DWORD
	s_waitcnt vmcnt(2)
	v_lshrrev_b32_e32 v21, 16, v11
	v_fma_f16 v15, v31, v18, -v15
	s_waitcnt vmcnt(1)
	v_mul_f16_sdwa v18, v30, v10 dst_sel:DWORD dst_unused:UNUSED_PAD src0_sel:WORD_1 src1_sel:DWORD
	v_mul_f16_sdwa v22, v30, v19 dst_sel:DWORD dst_unused:UNUSED_PAD src0_sel:WORD_1 src1_sel:DWORD
	s_waitcnt vmcnt(0)
	v_mul_f16_sdwa v23, v29, v11 dst_sel:DWORD dst_unused:UNUSED_PAD src0_sel:WORD_1 src1_sel:DWORD
	v_mul_f16_sdwa v24, v29, v21 dst_sel:DWORD dst_unused:UNUSED_PAD src0_sel:WORD_1 src1_sel:DWORD
	v_fmac_f16_e32 v20, v31, v9
	v_fma_f16 v9, v30, v19, -v18
	v_fmac_f16_e32 v22, v30, v10
	v_fma_f16 v10, v29, v21, -v23
	v_fmac_f16_e32 v24, v29, v11
	v_pack_b32_f16 v11, v17, v14
	v_pack_b32_f16 v8, v8, v13
	;; [unrolled: 1-line block ×5, first 2 shown]
	ds_write2_b32 v39, v6, v5 offset1:176
	ds_write2_b32 v3, v12, v11 offset0:32 offset1:208
	ds_write2_b32 v2, v7, v8 offset0:32 offset1:208
	ds_write_b32 v39, v9 offset:2816
	ds_write2_b32 v4, v13, v10 offset1:176
	s_waitcnt lgkmcnt(0)
	s_barrier
	buffer_gl0_inv
	ds_read2_b32 v[6:7], v39 offset1:176
	ds_read2_b32 v[8:9], v1 offset0:64 offset1:240
	ds_read2_b32 v[10:11], v3 offset0:32 offset1:208
	;; [unrolled: 1-line block ×3, first 2 shown]
	ds_read2_b32 v[14:15], v4 offset1:176
	v_lshlrev_b32_e32 v5, 1, v37
	v_and_b32_e32 v23, 1, v37
	s_waitcnt lgkmcnt(0)
	s_barrier
	buffer_gl0_inv
	v_lshlrev_b32_e32 v24, 2, v5
	v_lshlrev_b32_e32 v25, 2, v23
	v_add_nc_u32_e32 v42, 0x2c0, v5
	v_add_nc_u32_e32 v61, 0x420, v5
	;; [unrolled: 1-line block ×4, first 2 shown]
	v_and_or_b32 v27, 0x7fc, v62, v23
	v_pk_add_f16 v18, v6, v9 neg_lo:[0,1] neg_hi:[0,1]
	v_pk_add_f16 v10, v7, v10 neg_lo:[0,1] neg_hi:[0,1]
	;; [unrolled: 1-line block ×5, first 2 shown]
	v_pk_fma_f16 v17, v6, 2.0, v18 op_sel_hi:[1,0,1] neg_lo:[0,0,1] neg_hi:[0,0,1]
	v_pk_fma_f16 v9, v7, 2.0, v10 op_sel_hi:[1,0,1] neg_lo:[0,0,1] neg_hi:[0,0,1]
	;; [unrolled: 1-line block ×5, first 2 shown]
	ds_write_b64 v43, v[17:18]
	ds_write_b64 v28, v[9:10]
	ds_write2_b64 v26, v[19:20], v[13:14] offset0:32 offset1:208
	ds_write_b64 v24, v[21:22] offset:5632
	s_waitcnt lgkmcnt(0)
	s_barrier
	buffer_gl0_inv
	global_load_dword v21, v25, s[2:3]
	ds_read2_b32 v[7:8], v39 offset1:176
	ds_read2_b32 v[9:10], v1 offset0:64 offset1:240
	ds_read2_b32 v[11:12], v3 offset0:32 offset1:208
	;; [unrolled: 1-line block ×3, first 2 shown]
	ds_read2_b32 v[17:18], v4 offset1:176
	v_lshlrev_b32_e32 v6, 1, v63
	v_and_or_b32 v19, 0x1fc, v5, v23
	v_and_or_b32 v25, 0x7fc, v42, v23
	;; [unrolled: 1-line block ×3, first 2 shown]
	v_and_b32_e32 v15, 3, v37
	v_and_or_b32 v22, 0x3fc, v6, v23
	v_lshlrev_b32_e32 v23, 2, v19
	v_lshlrev_b32_e32 v25, 2, v25
	;; [unrolled: 1-line block ×6, first 2 shown]
	s_waitcnt vmcnt(0) lgkmcnt(0)
	s_barrier
	buffer_gl0_inv
	v_lshrrev_b32_e32 v19, 16, v7
	v_lshrrev_b32_e32 v22, 16, v10
	;; [unrolled: 1-line block ×10, first 2 shown]
	v_mul_f16_sdwa v53, v22, v21 dst_sel:DWORD dst_unused:UNUSED_PAD src0_sel:DWORD src1_sel:WORD_1
	v_mul_f16_sdwa v54, v10, v21 dst_sel:DWORD dst_unused:UNUSED_PAD src0_sel:DWORD src1_sel:WORD_1
	;; [unrolled: 1-line block ×10, first 2 shown]
	v_fmac_f16_e32 v54, v22, v21
	v_fma_f16 v10, v10, v21, -v53
	v_fma_f16 v11, v11, v21, -v51
	v_fmac_f16_e32 v55, v44, v21
	v_fma_f16 v12, v12, v21, -v52
	v_fmac_f16_e32 v56, v46, v21
	;; [unrolled: 2-line block ×4, first 2 shown]
	v_sub_f16_e32 v10, v7, v10
	v_sub_f16_e32 v22, v19, v54
	;; [unrolled: 1-line block ×10, first 2 shown]
	v_fma_f16 v7, v7, 2.0, -v10
	v_fma_f16 v19, v19, 2.0, -v22
	;; [unrolled: 1-line block ×10, first 2 shown]
	v_pack_b32_f16 v10, v10, v22
	v_pack_b32_f16 v7, v7, v19
	;; [unrolled: 1-line block ×10, first 2 shown]
	ds_write2_b32 v23, v7, v10 offset1:2
	ds_write2_b32 v24, v8, v11 offset1:2
	;; [unrolled: 1-line block ×5, first 2 shown]
	s_waitcnt lgkmcnt(0)
	s_barrier
	buffer_gl0_inv
	global_load_dword v22, v20, s[2:3] offset:8
	ds_read2_b32 v[7:8], v1 offset0:64 offset1:240
	ds_read2_b32 v[9:10], v3 offset0:32 offset1:208
	ds_read2_b32 v[11:12], v4 offset1:176
	ds_read2_b32 v[13:14], v39 offset1:176
	ds_read2_b32 v[17:18], v2 offset0:32 offset1:208
	v_and_or_b32 v20, 0x1f8, v5, v15
	v_and_or_b32 v44, 0x3f8, v6, v15
	v_and_or_b32 v47, 0x7f8, v42, v15
	v_and_or_b32 v48, 0x7f8, v61, v15
	v_and_or_b32 v15, 0x7f8, v62, v15
	v_lshlrev_b32_e32 v45, 2, v20
	v_lshlrev_b32_e32 v46, 2, v44
	v_and_b32_e32 v19, 7, v37
	v_lshlrev_b32_e32 v47, 2, v47
	v_lshlrev_b32_e32 v49, 2, v15
	;; [unrolled: 1-line block ×3, first 2 shown]
	s_waitcnt vmcnt(0) lgkmcnt(0)
	v_lshlrev_b32_e32 v41, 2, v19
	s_barrier
	buffer_gl0_inv
	v_lshrrev_b32_e32 v15, 16, v8
	v_lshrrev_b32_e32 v20, 16, v9
	;; [unrolled: 1-line block ×10, first 2 shown]
	v_mul_f16_sdwa v57, v8, v22 dst_sel:DWORD dst_unused:UNUSED_PAD src0_sel:DWORD src1_sel:WORD_1
	v_mul_f16_sdwa v69, v15, v22 dst_sel:DWORD dst_unused:UNUSED_PAD src0_sel:DWORD src1_sel:WORD_1
	;; [unrolled: 1-line block ×10, first 2 shown]
	v_fmac_f16_e32 v57, v15, v22
	v_fma_f16 v8, v8, v22, -v69
	v_fma_f16 v9, v9, v22, -v58
	v_fmac_f16_e32 v60, v20, v22
	v_fma_f16 v10, v10, v22, -v59
	v_fmac_f16_e32 v66, v44, v22
	;; [unrolled: 2-line block ×4, first 2 shown]
	v_sub_f16_e32 v8, v13, v8
	v_sub_f16_e32 v15, v52, v57
	;; [unrolled: 1-line block ×10, first 2 shown]
	v_fma_f16 v13, v13, 2.0, -v8
	v_fma_f16 v52, v52, 2.0, -v15
	;; [unrolled: 1-line block ×3, first 2 shown]
	v_pack_b32_f16 v8, v8, v15
	v_fma_f16 v15, v53, 2.0, -v20
	v_fma_f16 v17, v17, 2.0, -v10
	;; [unrolled: 1-line block ×7, first 2 shown]
	v_pack_b32_f16 v13, v13, v52
	v_pack_b32_f16 v9, v9, v20
	;; [unrolled: 1-line block ×9, first 2 shown]
	ds_write2_b32 v45, v13, v8 offset1:4
	ds_write2_b32 v46, v14, v9 offset1:4
	;; [unrolled: 1-line block ×5, first 2 shown]
	s_waitcnt lgkmcnt(0)
	s_barrier
	buffer_gl0_inv
	global_load_dword v44, v41, s[2:3] offset:24
	ds_read2_b32 v[7:8], v3 offset0:32 offset1:208
	ds_read2_b32 v[9:10], v4 offset1:176
	ds_read2_b32 v[11:12], v1 offset0:64 offset1:240
	ds_read2_b32 v[13:14], v39 offset1:176
	ds_read2_b32 v[17:18], v2 offset0:32 offset1:208
	v_and_or_b32 v20, 0x1f0, v5, v19
	v_and_or_b32 v50, 0x3f0, v6, v19
	;; [unrolled: 1-line block ×5, first 2 shown]
	v_lshlrev_b32_e32 v51, 2, v20
	v_lshlrev_b32_e32 v52, 2, v50
	v_and_b32_e32 v15, 15, v37
	v_lshlrev_b32_e32 v53, 2, v53
	v_lshlrev_b32_e32 v55, 2, v19
	;; [unrolled: 1-line block ×3, first 2 shown]
	s_waitcnt vmcnt(0) lgkmcnt(0)
	v_lshlrev_b32_e32 v41, 2, v15
	s_barrier
	buffer_gl0_inv
	v_and_or_b32 v0, 0x1e0, v5, v15
	v_lshrrev_b32_e32 v19, 16, v7
	v_lshrrev_b32_e32 v57, 16, v12
	;; [unrolled: 1-line block ×10, first 2 shown]
	v_and_or_b32 v5, 0x7e0, v42, v15
	v_mul_f16_sdwa v74, v12, v44 dst_sel:DWORD dst_unused:UNUSED_PAD src0_sel:DWORD src1_sel:WORD_1
	v_mul_f16_sdwa v75, v57, v44 dst_sel:DWORD dst_unused:UNUSED_PAD src0_sel:DWORD src1_sel:WORD_1
	;; [unrolled: 1-line block ×10, first 2 shown]
	v_fma_f16 v12, v12, v44, -v75
	v_fmac_f16_e32 v74, v57, v44
	v_fma_f16 v7, v7, v44, -v66
	v_fmac_f16_e32 v68, v19, v44
	;; [unrolled: 2-line block ×5, first 2 shown]
	v_sub_f16_e32 v12, v13, v12
	v_sub_f16_e32 v19, v58, v74
	;; [unrolled: 1-line block ×10, first 2 shown]
	v_fma_f16 v13, v13, 2.0, -v12
	v_fma_f16 v58, v58, 2.0, -v19
	;; [unrolled: 1-line block ×3, first 2 shown]
	v_pack_b32_f16 v12, v12, v19
	v_fma_f16 v19, v59, 2.0, -v20
	v_fma_f16 v17, v17, 2.0, -v8
	v_pack_b32_f16 v7, v7, v20
	v_fma_f16 v20, v60, 2.0, -v50
	v_fma_f16 v18, v18, 2.0, -v9
	v_pack_b32_f16 v8, v8, v50
	v_fma_f16 v50, v64, 2.0, -v56
	v_fma_f16 v11, v11, 2.0, -v10
	v_pack_b32_f16 v9, v9, v56
	v_fma_f16 v56, v65, 2.0, -v57
	v_pack_b32_f16 v13, v13, v58
	v_pack_b32_f16 v14, v14, v19
	v_pack_b32_f16 v17, v17, v20
	v_pack_b32_f16 v18, v18, v50
	v_pack_b32_f16 v10, v10, v57
	v_pack_b32_f16 v11, v11, v56
	ds_write2_b32 v51, v13, v12 offset1:8
	ds_write2_b32 v52, v14, v7 offset1:8
	;; [unrolled: 1-line block ×5, first 2 shown]
	s_waitcnt lgkmcnt(0)
	s_barrier
	buffer_gl0_inv
	global_load_dword v50, v41, s[2:3] offset:56
	ds_read2_b32 v[7:8], v1 offset0:64 offset1:240
	ds_read2_b32 v[17:18], v39 offset1:176
	ds_read2_b32 v[9:10], v3 offset0:32 offset1:208
	ds_read2_b32 v[2:3], v2 offset0:32 offset1:208
	ds_read2_b32 v[11:12], v4 offset1:176
	v_and_or_b32 v13, 0x7e0, v62, v15
	v_lshlrev_b32_e32 v56, 2, v0
	v_lshlrev_b32_e32 v58, 2, v5
	v_and_or_b32 v4, 0x3e0, v6, v15
	v_and_or_b32 v6, 0x7e0, v61, v15
	v_lshlrev_b32_e32 v60, 2, v13
	s_waitcnt vmcnt(0) lgkmcnt(0)
	s_barrier
	v_lshlrev_b32_e32 v57, 2, v4
	v_lshlrev_b32_e32 v59, 2, v6
	buffer_gl0_inv
	v_lshrrev_b32_e32 v0, 16, v8
	v_lshrrev_b32_e32 v4, 16, v17
	;; [unrolled: 1-line block ×10, first 2 shown]
	v_mul_f16_sdwa v20, v0, v50 dst_sel:DWORD dst_unused:UNUSED_PAD src0_sel:DWORD src1_sel:WORD_1
	v_mul_f16_sdwa v64, v8, v50 dst_sel:DWORD dst_unused:UNUSED_PAD src0_sel:DWORD src1_sel:WORD_1
	;; [unrolled: 1-line block ×10, first 2 shown]
	v_fma_f16 v8, v8, v50, -v20
	v_fmac_f16_e32 v64, v0, v50
	v_fma_f16 v0, v9, v50, -v65
	v_fmac_f16_e32 v67, v5, v50
	;; [unrolled: 2-line block ×5, first 2 shown]
	v_sub_f16_e32 v9, v17, v8
	v_sub_f16_e32 v77, v4, v64
	;; [unrolled: 1-line block ×10, first 2 shown]
	v_fma_f16 v8, v17, 2.0, -v9
	v_fma_f16 v65, v4, 2.0, -v77
	;; [unrolled: 1-line block ×10, first 2 shown]
	v_pack_b32_f16 v0, v9, v77
	v_pack_b32_f16 v6, v8, v65
	;; [unrolled: 1-line block ×10, first 2 shown]
	ds_write2_b32 v56, v6, v0 offset1:16
	ds_write2_b32 v57, v7, v4 offset1:16
	;; [unrolled: 1-line block ×5, first 2 shown]
	s_waitcnt lgkmcnt(0)
	s_barrier
	buffer_gl0_inv
	s_and_saveexec_b32 s6, vcc_lo
	s_cbranch_execz .LBB0_3
; %bb.2:
	v_add_nc_u32_e32 v0, 0x400, v39
	v_add_nc_u32_e32 v2, 0xe00, v39
	ds_read2_b32 v[10:11], v1 offset1:160
	v_add_nc_u32_e32 v1, 0x1400, v39
	ds_read2_b32 v[8:9], v39 offset1:160
	ds_read2_b32 v[19:20], v0 offset0:64 offset1:224
	ds_read2_b32 v[14:15], v2 offset0:64 offset1:224
	ds_read2_b32 v[12:13], v1 offset1:160
	ds_read_b32 v86, v39 offset:6400
	s_waitcnt lgkmcnt(5)
	v_lshrrev_b32_e32 v83, 16, v10
	v_lshrrev_b32_e32 v76, 16, v11
	s_waitcnt lgkmcnt(4)
	v_lshrrev_b32_e32 v65, 16, v8
	v_lshrrev_b32_e32 v77, 16, v9
	;; [unrolled: 3-line block ×5, first 2 shown]
	s_waitcnt lgkmcnt(0)
	v_lshrrev_b32_e32 v87, 16, v86
.LBB0_3:
	s_or_b32 exec_lo, exec_lo, s6
	v_and_b32_e32 v41, 31, v37
	v_mad_u64_u32 v[17:18], null, v41, 40, s[2:3]
	s_clause 0x2
	global_load_dwordx4 v[4:7], v[17:18], off offset:120
	global_load_dwordx4 v[0:3], v[17:18], off offset:136
	global_load_dwordx2 v[17:18], v[17:18], off offset:152
	s_waitcnt vmcnt(0)
	s_barrier
	buffer_gl0_inv
	v_mul_f16_sdwa v80, v77, v4 dst_sel:DWORD dst_unused:UNUSED_PAD src0_sel:DWORD src1_sel:WORD_1
	v_mul_f16_sdwa v75, v9, v4 dst_sel:DWORD dst_unused:UNUSED_PAD src0_sel:DWORD src1_sel:WORD_1
	;; [unrolled: 1-line block ×9, first 2 shown]
	v_fma_f16 v81, v9, v4, -v80
	v_fmac_f16_e32 v75, v77, v4
	v_fma_f16 v9, v86, v18, -v96
	v_fmac_f16_e32 v67, v87, v18
	v_mul_f16_sdwa v89, v78, v6 dst_sel:DWORD dst_unused:UNUSED_PAD src0_sel:DWORD src1_sel:WORD_1
	v_mul_f16_sdwa v73, v20, v6 dst_sel:DWORD dst_unused:UNUSED_PAD src0_sel:DWORD src1_sel:WORD_1
	;; [unrolled: 1-line block ×8, first 2 shown]
	v_fma_f16 v80, v19, v5, -v88
	v_fmac_f16_e32 v74, v79, v5
	v_fma_f16 v77, v11, v0, -v91
	v_fma_f16 v11, v13, v17, -v95
	v_fmac_f16_e32 v66, v64, v17
	v_sub_f16_e32 v96, v81, v9
	v_sub_f16_e32 v100, v75, v67
	v_mul_f16_sdwa v72, v10, v7 dst_sel:DWORD dst_unused:UNUSED_PAD src0_sel:DWORD src1_sel:WORD_1
	v_mul_f16_sdwa v70, v14, v1 dst_sel:DWORD dst_unused:UNUSED_PAD src0_sel:DWORD src1_sel:WORD_1
	;; [unrolled: 1-line block ×3, first 2 shown]
	v_fma_f16 v79, v20, v6, -v89
	v_fmac_f16_e32 v73, v78, v6
	v_fma_f16 v78, v10, v7, -v90
	v_fmac_f16_e32 v71, v76, v0
	v_fma_f16 v76, v14, v1, -v92
	v_fma_f16 v14, v15, v2, -v93
	;; [unrolled: 1-line block ×3, first 2 shown]
	v_fmac_f16_e32 v68, v84, v3
	v_add_f16_e32 v93, v81, v9
	v_add_f16_e32 v105, v75, v67
	v_sub_f16_e32 v98, v80, v11
	v_sub_f16_e32 v102, v74, v66
	v_mul_f16_e32 v90, 0xb853, v100
	v_mul_f16_e32 v92, 0xb853, v96
	v_fmac_f16_e32 v72, v83, v7
	v_fmac_f16_e32 v70, v85, v1
	;; [unrolled: 1-line block ×3, first 2 shown]
	v_add_f16_e32 v94, v80, v11
	v_add_f16_e32 v107, v74, v66
	v_sub_f16_e32 v95, v79, v10
	v_sub_f16_e32 v103, v73, v68
	v_mul_f16_e32 v85, 0xbb47, v102
	v_mul_f16_e32 v89, 0xbb47, v98
	v_fmamk_f16 v13, v93, 0x3abb, v90
	v_fma_f16 v19, v105, 0x3abb, -v92
	v_add_f16_e32 v88, v79, v10
	v_add_f16_e32 v108, v73, v68
	v_sub_f16_e32 v97, v78, v14
	v_sub_f16_e32 v101, v72, v69
	v_mul_f16_e32 v82, 0xbbeb, v103
	v_mul_f16_e32 v86, 0xbbeb, v95
	v_fmamk_f16 v20, v94, 0x36a6, v85
	v_fma_f16 v64, v107, 0x36a6, -v89
	v_add_f16_e32 v87, v8, v13
	v_add_f16_e32 v19, v65, v19
	;; [unrolled: 1-line block ×4, first 2 shown]
	v_sub_f16_e32 v91, v77, v76
	v_sub_f16_e32 v99, v71, v70
	v_mul_f16_e32 v15, 0xba0c, v101
	v_mul_f16_e32 v84, 0xba0c, v97
	v_fmamk_f16 v109, v88, 0xb08e, v82
	v_fma_f16 v110, v108, 0xb08e, -v86
	v_add_f16_e32 v20, v20, v87
	v_add_f16_e32 v19, v64, v19
	;; [unrolled: 1-line block ×4, first 2 shown]
	v_mul_f16_e32 v13, 0xb482, v99
	v_mul_f16_e32 v87, 0xb482, v91
	v_fmamk_f16 v64, v83, 0xb93d, v15
	v_fma_f16 v111, v106, 0xb93d, -v84
	v_add_f16_e32 v20, v109, v20
	v_add_f16_e32 v19, v110, v19
	v_fmamk_f16 v109, v12, 0xbbad, v13
	v_fma_f16 v110, v104, 0xbbad, -v87
	v_add_f16_e32 v112, v64, v20
	v_add_f16_e32 v111, v111, v19
	v_lshlrev_b32_e32 v64, 2, v42
	v_lshlrev_b32_e32 v20, 2, v61
	;; [unrolled: 1-line block ×3, first 2 shown]
	v_add_f16_e32 v61, v109, v112
	v_add_f16_e32 v62, v110, v111
	v_lshrrev_b32_e32 v42, 5, v37
	s_and_saveexec_b32 s6, vcc_lo
	s_cbranch_execz .LBB0_5
; %bb.4:
	v_mul_f16_e32 v109, 0x36a6, v105
	v_mul_f16_e32 v113, 0xb93d, v107
	;; [unrolled: 1-line block ×5, first 2 shown]
	v_fmamk_f16 v114, v96, 0x3b47, v109
	v_fmamk_f16 v118, v98, 0x3a0c, v113
	v_mul_f16_e32 v126, 0xba0c, v102
	v_fmamk_f16 v125, v93, 0x36a6, v122
	v_mul_f16_e32 v129, 0x3482, v103
	v_add_f16_e32 v114, v65, v114
	v_mul_f16_e32 v130, 0xb08e, v105
	v_fmamk_f16 v128, v94, 0xb93d, v126
	v_add_f16_e32 v125, v8, v125
	v_mul_f16_e32 v131, 0x3beb, v101
	v_add_f16_e32 v114, v118, v114
	v_fmamk_f16 v118, v95, 0xb482, v119
	v_fmamk_f16 v133, v96, 0x3beb, v130
	v_add_f16_e32 v125, v128, v125
	v_fmamk_f16 v128, v88, 0xbbad, v129
	v_mul_f16_e32 v134, 0xbbad, v107
	v_add_f16_e32 v114, v118, v114
	v_fmamk_f16 v118, v97, 0xbbeb, v123
	v_mul_f16_e32 v135, 0x36a6, v108
	;; [unrolled: 3-line block ×3, first 2 shown]
	v_add_f16_e32 v114, v118, v114
	v_mul_f16_e32 v118, 0x3abb, v104
	v_mul_f16_e32 v137, 0x3abb, v106
	v_add_f16_e32 v125, v128, v125
	v_mul_f16_e32 v128, 0x3853, v99
	v_fmamk_f16 v139, v93, 0xb08e, v136
	v_fmamk_f16 v132, v91, 0xb853, v118
	v_mul_f16_e32 v140, 0x3482, v102
	v_mul_f16_e32 v141, 0x3b47, v103
	v_fmamk_f16 v138, v12, 0x3abb, v128
	v_mul_f16_e32 v142, 0xb93d, v105
	v_add_f16_e32 v114, v132, v114
	v_add_f16_e32 v132, v65, v133
	v_fmamk_f16 v133, v98, 0xb482, v134
	v_add_f16_e32 v125, v138, v125
	v_add_f16_e32 v138, v8, v139
	v_fmamk_f16 v139, v94, 0xbbad, v140
	v_mul_f16_e32 v143, 0xb853, v101
	v_add_f16_e32 v132, v133, v132
	v_fmamk_f16 v133, v95, 0xbb47, v135
	v_fmamk_f16 v145, v96, 0x3a0c, v142
	v_add_f16_e32 v138, v139, v138
	v_fmamk_f16 v139, v88, 0x36a6, v141
	v_mul_f16_e32 v146, 0xb08e, v107
	v_add_f16_e32 v132, v133, v132
	v_fmamk_f16 v133, v97, 0x3853, v137
	v_mul_f16_e32 v147, 0x3abb, v108
	;; [unrolled: 3-line block ×3, first 2 shown]
	v_add_f16_e32 v132, v133, v132
	v_mul_f16_e32 v133, 0xb93d, v104
	v_mul_f16_e32 v149, 0xbbad, v106
	v_add_f16_e32 v138, v139, v138
	v_mul_f16_e32 v139, 0xba0c, v99
	v_fmamk_f16 v151, v93, 0xb93d, v148
	v_fmamk_f16 v144, v91, 0x3a0c, v133
	v_mul_f16_e32 v152, 0x3beb, v102
	v_mul_f16_e32 v153, 0xb853, v103
	v_fmamk_f16 v150, v12, 0xb93d, v139
	v_mul_f16_e32 v111, 0x3abb, v105
	v_add_f16_e32 v132, v144, v132
	v_add_f16_e32 v144, v65, v145
	v_fmamk_f16 v145, v98, 0xbbeb, v146
	v_add_f16_e32 v138, v150, v138
	v_add_f16_e32 v150, v8, v151
	v_fmamk_f16 v151, v94, 0xb08e, v152
	v_mul_f16_e32 v105, 0xbbad, v105
	v_add_f16_e32 v144, v145, v144
	v_fmamk_f16 v145, v95, 0x3853, v147
	v_mul_f16_e32 v154, 0xb482, v101
	;; [unrolled: 3-line block ×3, first 2 shown]
	v_add_f16_e32 v144, v145, v144
	v_fmamk_f16 v145, v97, 0x3482, v149
	v_fmamk_f16 v156, v96, 0x3482, v105
	v_mul_f16_e32 v107, 0x3abb, v107
	v_add_f16_e32 v150, v151, v150
	v_fmamk_f16 v151, v83, 0xbbad, v154
	v_add_f16_e32 v144, v145, v144
	v_mul_f16_e32 v145, 0x36a6, v104
	v_mul_f16_e32 v117, 0xb08e, v108
	v_mul_f16_e32 v108, 0xb93d, v108
	v_add_f16_e32 v150, v151, v150
	v_mul_f16_e32 v151, 0x3b47, v99
	v_fmamk_f16 v155, v91, 0xbb47, v145
	v_mul_f16_e32 v100, 0xb482, v100
	v_mul_f16_e32 v121, 0xb93d, v106
	;; [unrolled: 1-line block ×3, first 2 shown]
	v_fmamk_f16 v157, v12, 0x36a6, v151
	v_add_f16_e32 v144, v155, v144
	v_add_f16_e32 v155, v65, v156
	v_fmamk_f16 v156, v98, 0xb853, v107
	v_fmamk_f16 v158, v93, 0xbbad, v100
	v_mul_f16_e32 v102, 0x3853, v102
	v_fmac_f16_e32 v105, 0xb482, v96
	v_fma_f16 v100, v93, 0xbbad, -v100
	v_add_f16_e32 v155, v156, v155
	v_fmamk_f16 v156, v95, 0x3a0c, v108
	v_add_f16_e32 v150, v157, v150
	v_add_f16_e32 v157, v8, v158
	v_fmamk_f16 v158, v94, 0x3abb, v102
	v_mul_f16_e32 v103, 0xba0c, v103
	v_add_f16_e32 v155, v156, v155
	v_fmamk_f16 v156, v97, 0xbb47, v106
	v_add_f16_e32 v105, v65, v105
	v_fmac_f16_e32 v107, 0x3853, v98
	v_add_f16_e32 v100, v8, v100
	v_fma_f16 v102, v94, 0x3abb, -v102
	v_add_f16_e32 v155, v156, v155
	v_add_f16_e32 v156, v158, v157
	v_fmamk_f16 v157, v88, 0xb93d, v103
	v_mul_f16_e32 v101, 0x3b47, v101
	v_add_f16_e32 v105, v107, v105
	v_fmac_f16_e32 v108, 0xba0c, v95
	v_add_f16_e32 v100, v102, v100
	v_fma_f16 v102, v88, 0xb93d, -v103
	v_mul_f16_e32 v127, 0xbbad, v104
	v_mul_f16_e32 v104, 0xb08e, v104
	v_add_f16_e32 v156, v157, v156
	v_fmamk_f16 v157, v83, 0x36a6, v101
	v_add_f16_e32 v105, v108, v105
	v_fmac_f16_e32 v106, 0x3b47, v97
	v_fmac_f16_e32 v142, 0xba0c, v96
	v_add_f16_e32 v100, v102, v100
	v_fma_f16 v101, v83, 0x36a6, -v101
	v_fmamk_f16 v158, v91, 0x3beb, v104
	v_mul_f16_e32 v99, 0xbbeb, v99
	v_add_f16_e32 v103, v106, v105
	v_fmac_f16_e32 v104, 0xbbeb, v91
	v_add_f16_e32 v105, v65, v142
	v_fmac_f16_e32 v146, 0x3beb, v98
	v_add_f16_e32 v100, v101, v100
	v_fma_f16 v101, v93, 0xb93d, -v148
	v_fmac_f16_e32 v130, 0xbbeb, v96
	v_add_f16_e32 v107, v157, v156
	v_fmamk_f16 v108, v12, 0xb08e, v99
	v_add_f16_e32 v103, v104, v103
	v_add_f16_e32 v104, v146, v105
	;; [unrolled: 1-line block ×3, first 2 shown]
	v_fma_f16 v105, v94, 0xb08e, -v152
	v_add_f16_e32 v106, v65, v130
	v_fmac_f16_e32 v134, 0x3482, v98
	v_mul_f16_e32 v110, 0x3abb, v93
	v_add_f16_e32 v102, v108, v107
	v_add_f16_e32 v101, v105, v101
	v_fma_f16 v105, v88, 0x3abb, -v153
	v_add_f16_e32 v106, v134, v106
	v_fmac_f16_e32 v135, 0x3b47, v95
	v_fma_f16 v107, v93, 0xb08e, -v136
	v_fma_f16 v93, v93, 0x36a6, -v122
	v_mul_f16_e32 v112, 0x36a6, v94
	v_add_f16_e32 v101, v105, v101
	v_fma_f16 v105, v83, 0xbbad, -v154
	v_add_f16_e32 v106, v135, v106
	v_fmac_f16_e32 v137, 0xb853, v97
	v_add_f16_e32 v107, v8, v107
	v_fma_f16 v108, v94, 0xbbad, -v140
	v_add_f16_e32 v93, v8, v93
	v_fma_f16 v94, v94, 0xb93d, -v126
	v_add_f16_e32 v81, v8, v81
	v_add_f16_e32 v75, v65, v75
	v_mul_f16_e32 v116, 0xb08e, v88
	v_add_f16_e32 v101, v105, v101
	v_add_f16_e32 v105, v137, v106
	;; [unrolled: 1-line block ×3, first 2 shown]
	v_fma_f16 v107, v88, 0x36a6, -v141
	v_add_f16_e32 v93, v94, v93
	v_fma_f16 v88, v88, 0xbbad, -v129
	v_add_f16_e32 v80, v81, v80
	v_add_f16_e32 v74, v75, v74
	v_fma_f16 v75, v83, 0xb08e, -v131
	v_fmac_f16_e32 v109, 0xbb47, v96
	v_add_f16_e32 v81, v88, v93
	v_add_f16_e32 v79, v80, v79
	;; [unrolled: 1-line block ×6, first 2 shown]
	v_sub_f16_e32 v75, v110, v90
	v_add_f16_e32 v78, v79, v78
	v_add_f16_e32 v72, v73, v72
	;; [unrolled: 1-line block ×7, first 2 shown]
	v_sub_f16_e32 v77, v112, v85
	v_add_f16_e32 v65, v73, v65
	v_add_f16_e32 v72, v86, v117
	;; [unrolled: 1-line block ×4, first 2 shown]
	v_mul_f16_e32 v120, 0xb93d, v83
	v_fmac_f16_e32 v113, 0xba0c, v98
	v_add_f16_e32 v8, v77, v8
	v_sub_f16_e32 v71, v116, v82
	v_add_f16_e32 v65, v72, v65
	v_add_f16_e32 v14, v73, v14
	;; [unrolled: 1-line block ×4, first 2 shown]
	v_mul_f16_e32 v124, 0xbbad, v12
	v_fmac_f16_e32 v133, 0xba0c, v91
	v_add_f16_e32 v98, v107, v106
	v_add_f16_e32 v107, v113, v108
	v_fmac_f16_e32 v119, 0x3482, v95
	v_add_f16_e32 v8, v71, v8
	v_sub_f16_e32 v15, v120, v15
	v_add_f16_e32 v10, v14, v10
	v_add_f16_e32 v14, v72, v65
	;; [unrolled: 1-line block ×3, first 2 shown]
	v_fmac_f16_e32 v147, 0xb853, v95
	v_fma_f16 v106, v83, 0x3abb, -v143
	v_add_f16_e32 v95, v133, v105
	v_add_f16_e32 v105, v119, v107
	v_fmac_f16_e32 v123, 0x3beb, v97
	v_add_f16_e32 v68, v87, v127
	v_add_f16_e32 v8, v15, v8
	;; [unrolled: 1-line block ×3, first 2 shown]
	v_mul_u32_u24_e32 v11, 0x160, v42
	v_add_f16_e32 v15, v65, v66
	v_sub_f16_e32 v13, v124, v13
	v_add_f16_e32 v104, v147, v104
	v_fmac_f16_e32 v149, 0xb482, v97
	v_fma_f16 v99, v12, 0xb08e, -v99
	v_fma_f16 v96, v12, 0x36a6, -v151
	v_add_f16_e32 v98, v106, v98
	v_fma_f16 v94, v12, 0xb93d, -v139
	v_add_f16_e32 v97, v123, v105
	v_fmac_f16_e32 v118, 0x3853, v91
	v_add_f16_e32 v14, v68, v14
	v_add_f16_e32 v9, v10, v9
	v_or_b32_e32 v10, v11, v41
	v_add_f16_e32 v11, v15, v67
	v_add_f16_e32 v8, v13, v8
	v_fma_f16 v12, v12, 0x3abb, -v128
	v_add_f16_e32 v104, v149, v104
	v_fmac_f16_e32 v145, 0x3b47, v91
	v_add_f16_e32 v13, v118, v97
	v_lshlrev_b32_e32 v10, 2, v10
	v_pack_b32_f16 v9, v9, v11
	v_pack_b32_f16 v8, v8, v14
	v_add_f16_e32 v11, v12, v74
	v_add_f16_e32 v12, v94, v98
	;; [unrolled: 1-line block ×6, first 2 shown]
	ds_write2_b32 v10, v9, v8 offset1:32
	v_pack_b32_f16 v8, v11, v13
	v_pack_b32_f16 v9, v12, v95
	;; [unrolled: 1-line block ×8, first 2 shown]
	v_add_nc_u32_e32 v66, 0x400, v10
	v_perm_b32 v67, v62, v61, 0x5040100
	ds_write2_b32 v10, v8, v9 offset0:64 offset1:96
	ds_write2_b32 v10, v11, v12 offset0:128 offset1:160
	;; [unrolled: 1-line block ×3, first 2 shown]
	ds_write2_b32 v66, v15, v65 offset1:32
	ds_write_b32 v10, v67 offset:1280
.LBB0_5:
	s_or_b32 exec_lo, exec_lo, s6
	v_lshlrev_b32_e32 v8, 4, v37
	s_waitcnt lgkmcnt(0)
	s_barrier
	buffer_gl0_inv
	v_add_nc_u32_e32 v66, 0x500, v39
	global_load_dwordx4 v[12:15], v8, s[2:3] offset:1400
	v_lshlrev_b32_e32 v8, 4, v63
	v_add_nc_u32_e32 v63, 0xa00, v39
	v_add_nc_u32_e32 v67, 0x1000, v39
	;; [unrolled: 1-line block ×3, first 2 shown]
	ds_read2_b32 v[68:69], v39 offset1:176
	global_load_dwordx4 v[8:11], v8, s[2:3] offset:1400
	ds_read2_b32 v[70:71], v66 offset0:32 offset1:208
	ds_read2_b32 v[72:73], v63 offset0:64 offset1:240
	;; [unrolled: 1-line block ×3, first 2 shown]
	ds_read2_b32 v[76:77], v65 offset1:176
	v_lshlrev_b32_e32 v78, 2, v37
	v_add_co_u32 v80, s0, s0, v78
	v_add_co_ci_u32_e64 v81, null, s1, 0, s0
	v_add_co_u32 v78, s0, 0x1800, v80
	v_add_co_ci_u32_e64 v79, s0, 0, v81, s0
	s_waitcnt lgkmcnt(3)
	v_lshrrev_b32_e32 v84, 16, v70
	s_waitcnt lgkmcnt(2)
	v_lshrrev_b32_e32 v85, 16, v72
	;; [unrolled: 2-line block ×4, first 2 shown]
	v_lshrrev_b32_e32 v88, 16, v71
	v_lshrrev_b32_e32 v89, 16, v73
	;; [unrolled: 1-line block ×6, first 2 shown]
	s_waitcnt vmcnt(1)
	v_mul_f16_sdwa v92, v84, v12 dst_sel:DWORD dst_unused:UNUSED_PAD src0_sel:DWORD src1_sel:WORD_1
	v_mul_f16_sdwa v93, v70, v12 dst_sel:DWORD dst_unused:UNUSED_PAD src0_sel:DWORD src1_sel:WORD_1
	;; [unrolled: 1-line block ×8, first 2 shown]
	s_waitcnt vmcnt(0)
	v_mul_f16_sdwa v100, v88, v8 dst_sel:DWORD dst_unused:UNUSED_PAD src0_sel:DWORD src1_sel:WORD_1
	v_mul_f16_sdwa v101, v71, v8 dst_sel:DWORD dst_unused:UNUSED_PAD src0_sel:DWORD src1_sel:WORD_1
	v_mul_f16_sdwa v102, v89, v9 dst_sel:DWORD dst_unused:UNUSED_PAD src0_sel:DWORD src1_sel:WORD_1
	v_mul_f16_sdwa v103, v73, v9 dst_sel:DWORD dst_unused:UNUSED_PAD src0_sel:DWORD src1_sel:WORD_1
	v_mul_f16_sdwa v104, v90, v10 dst_sel:DWORD dst_unused:UNUSED_PAD src0_sel:DWORD src1_sel:WORD_1
	v_mul_f16_sdwa v105, v75, v10 dst_sel:DWORD dst_unused:UNUSED_PAD src0_sel:DWORD src1_sel:WORD_1
	v_mul_f16_sdwa v106, v91, v11 dst_sel:DWORD dst_unused:UNUSED_PAD src0_sel:DWORD src1_sel:WORD_1
	v_mul_f16_sdwa v107, v77, v11 dst_sel:DWORD dst_unused:UNUSED_PAD src0_sel:DWORD src1_sel:WORD_1
	v_fma_f16 v70, v70, v12, -v92
	v_fmac_f16_e32 v93, v84, v12
	v_fma_f16 v72, v72, v13, -v94
	v_fmac_f16_e32 v95, v85, v13
	;; [unrolled: 2-line block ×8, first 2 shown]
	v_add_f16_e32 v84, v68, v70
	v_add_f16_e32 v85, v72, v74
	v_sub_f16_e32 v88, v70, v72
	v_sub_f16_e32 v89, v76, v74
	v_add_f16_e32 v90, v70, v76
	v_add_f16_e32 v94, v82, v93
	;; [unrolled: 1-line block ×4, first 2 shown]
	v_sub_f16_e32 v86, v93, v99
	v_sub_f16_e32 v91, v72, v70
	;; [unrolled: 1-line block ×9, first 2 shown]
	v_add_f16_e32 v108, v69, v71
	v_add_f16_e32 v109, v73, v75
	;; [unrolled: 1-line block ×7, first 2 shown]
	v_fma_f16 v84, -0.5, v85, v68
	v_add_f16_e32 v85, v88, v89
	v_fma_f16 v68, -0.5, v90, v68
	v_add_f16_e32 v89, v94, v95
	v_fma_f16 v90, -0.5, v96, v82
	v_sub_f16_e32 v87, v95, v97
	v_fmac_f16_e32 v82, -0.5, v104
	v_sub_f16_e32 v110, v101, v107
	v_sub_f16_e32 v111, v103, v105
	;; [unrolled: 1-line block ×6, first 2 shown]
	v_add_f16_e32 v88, v91, v92
	v_add_f16_e32 v91, v100, v102
	;; [unrolled: 1-line block ×4, first 2 shown]
	v_fma_f16 v93, -0.5, v109, v69
	v_fmac_f16_e32 v69, -0.5, v114
	v_add_f16_e32 v96, v117, v103
	v_fma_f16 v100, -0.5, v118, v83
	v_fmac_f16_e32 v83, -0.5, v122
	v_add_f16_e32 v72, v72, v74
	v_fmamk_f16 v74, v86, 0x3b9c, v84
	v_add_f16_e32 v89, v89, v97
	v_fmamk_f16 v97, v70, 0xbb9c, v90
	v_sub_f16_e32 v120, v101, v103
	v_sub_f16_e32 v101, v103, v101
	v_fmamk_f16 v103, v87, 0xbb9c, v68
	v_fmamk_f16 v104, v98, 0x3b9c, v82
	v_fmac_f16_e32 v68, 0x3b9c, v87
	v_fmac_f16_e32 v82, 0xbb9c, v98
	;; [unrolled: 1-line block ×4, first 2 shown]
	v_sub_f16_e32 v113, v77, v75
	v_sub_f16_e32 v116, v75, v77
	;; [unrolled: 1-line block ×4, first 2 shown]
	v_add_f16_e32 v73, v73, v75
	v_fmamk_f16 v75, v110, 0x3b9c, v93
	v_fmac_f16_e32 v93, 0xbb9c, v110
	v_fmamk_f16 v106, v111, 0xbb9c, v69
	v_fmac_f16_e32 v69, 0x3b9c, v111
	v_add_f16_e32 v96, v96, v105
	v_fmamk_f16 v105, v71, 0xbb9c, v100
	v_fmac_f16_e32 v100, 0x3b9c, v71
	v_fmamk_f16 v108, v119, 0x3b9c, v83
	v_fmac_f16_e32 v83, 0xbb9c, v119
	v_fmac_f16_e32 v74, 0x38b4, v87
	;; [unrolled: 1-line block ×9, first 2 shown]
	v_add_f16_e32 v94, v112, v113
	v_add_f16_e32 v95, v115, v116
	;; [unrolled: 1-line block ×6, first 2 shown]
	v_fmac_f16_e32 v75, 0x38b4, v111
	v_fmac_f16_e32 v93, 0xb8b4, v111
	v_fmac_f16_e32 v106, 0x38b4, v110
	v_fmac_f16_e32 v69, 0xb8b4, v110
	v_fmac_f16_e32 v105, 0xb8b4, v119
	v_fmac_f16_e32 v100, 0x38b4, v119
	v_fmac_f16_e32 v108, 0xb8b4, v71
	v_fmac_f16_e32 v83, 0x38b4, v71
	v_fmac_f16_e32 v74, 0x34f2, v85
	v_fmac_f16_e32 v97, 0x34f2, v91
	v_add_f16_e32 v70, v73, v77
	v_add_f16_e32 v73, v96, v107
	v_fmac_f16_e32 v103, 0x34f2, v88
	v_fmac_f16_e32 v104, 0x34f2, v92
	;; [unrolled: 1-line block ×14, first 2 shown]
	v_pack_b32_f16 v71, v72, v76
	v_pack_b32_f16 v72, v74, v97
	;; [unrolled: 1-line block ×10, first 2 shown]
	ds_write_b32 v39, v72 offset:1408
	ds_write_b32 v39, v73 offset:2816
	;; [unrolled: 1-line block ×4, first 2 shown]
	ds_write2_b32 v39, v71, v70 offset1:176
	ds_write_b32 v39, v75 offset:2112
	ds_write_b32 v39, v76 offset:3520
	;; [unrolled: 1-line block ×4, first 2 shown]
	s_waitcnt lgkmcnt(0)
	s_barrier
	buffer_gl0_inv
	global_load_dword v74, v[78:79], off offset:896
	v_add_co_u32 v68, s0, 0x1b80, v80
	v_add_co_ci_u32_e64 v69, s0, 0, v81, s0
	v_add_co_u32 v70, s0, 0x2800, v80
	v_add_co_ci_u32_e64 v71, s0, 0, v81, s0
	global_load_dword v78, v[68:69], off offset:704
	v_add_co_u32 v72, s0, 0x2000, v80
	v_add_co_ci_u32_e64 v73, s0, 0, v81, s0
	s_clause 0x5
	global_load_dword v79, v[70:71], off offset:320
	global_load_dword v82, v[70:71], off offset:1024
	;; [unrolled: 1-line block ×6, first 2 shown]
	v_add_co_u32 v68, s0, 0x3000, v80
	v_add_co_ci_u32_e64 v69, s0, 0, v81, s0
	s_clause 0x1
	global_load_dword v80, v[68:69], off offset:384
	global_load_dword v81, v[68:69], off offset:1088
	ds_read2_b32 v[68:69], v39 offset1:176
	v_add_nc_u32_e32 v89, 0x800, v39
	s_waitcnt lgkmcnt(0)
	v_lshrrev_b32_e32 v70, 16, v68
	s_waitcnt vmcnt(9)
	v_mul_f16_sdwa v71, v70, v74 dst_sel:DWORD dst_unused:UNUSED_PAD src0_sel:DWORD src1_sel:WORD_1
	v_mul_f16_sdwa v72, v68, v74 dst_sel:DWORD dst_unused:UNUSED_PAD src0_sel:DWORD src1_sel:WORD_1
	v_fma_f16 v68, v68, v74, -v71
	v_fmac_f16_e32 v72, v70, v74
	s_waitcnt vmcnt(8)
	v_mul_f16_sdwa v88, v69, v78 dst_sel:DWORD dst_unused:UNUSED_PAD src0_sel:DWORD src1_sel:WORD_1
	v_pack_b32_f16 v68, v68, v72
	ds_write_b32 v39, v68
	ds_read2_b32 v[70:71], v63 offset0:64 offset1:240
	ds_read2_b32 v[72:73], v67 offset0:32 offset1:208
	;; [unrolled: 1-line block ×3, first 2 shown]
	ds_read2_b32 v[76:77], v65 offset1:176
	v_lshrrev_b32_e32 v68, 16, v69
	v_mul_f16_sdwa v87, v68, v78 dst_sel:DWORD dst_unused:UNUSED_PAD src0_sel:DWORD src1_sel:WORD_1
	v_fmac_f16_e32 v88, v68, v78
	v_add_nc_u32_e32 v68, 0xd00, v39
	v_fma_f16 v69, v69, v78, -v87
	v_add_nc_u32_e32 v78, 0x200, v39
	v_add_nc_u32_e32 v87, 0x1300, v39
	v_pack_b32_f16 v69, v69, v88
	s_waitcnt lgkmcnt(3)
	v_lshrrev_b32_e32 v88, 16, v71
	s_waitcnt vmcnt(7)
	v_mul_f16_sdwa v90, v71, v79 dst_sel:DWORD dst_unused:UNUSED_PAD src0_sel:DWORD src1_sel:WORD_1
	s_waitcnt lgkmcnt(2)
	v_lshrrev_b32_e32 v91, 16, v72
	s_waitcnt vmcnt(6)
	v_mul_f16_sdwa v92, v72, v82 dst_sel:DWORD dst_unused:UNUSED_PAD src0_sel:DWORD src1_sel:WORD_1
	;; [unrolled: 4-line block ×3, first 2 shown]
	v_lshrrev_b32_e32 v95, 16, v73
	v_mul_f16_sdwa v96, v73, v83 dst_sel:DWORD dst_unused:UNUSED_PAD src0_sel:DWORD src1_sel:WORD_1
	v_lshrrev_b32_e32 v97, 16, v75
	v_mul_f16_sdwa v98, v75, v84 dst_sel:DWORD dst_unused:UNUSED_PAD src0_sel:DWORD src1_sel:WORD_1
	s_waitcnt lgkmcnt(0)
	v_lshrrev_b32_e32 v99, 16, v76
	s_waitcnt vmcnt(1)
	v_mul_f16_sdwa v100, v76, v80 dst_sel:DWORD dst_unused:UNUSED_PAD src0_sel:DWORD src1_sel:WORD_1
	v_lshrrev_b32_e32 v101, 16, v70
	v_mul_f16_sdwa v102, v70, v85 dst_sel:DWORD dst_unused:UNUSED_PAD src0_sel:DWORD src1_sel:WORD_1
	v_lshrrev_b32_e32 v103, 16, v77
	v_mul_f16_sdwa v105, v88, v79 dst_sel:DWORD dst_unused:UNUSED_PAD src0_sel:DWORD src1_sel:WORD_1
	v_fmac_f16_e32 v90, v88, v79
	v_mul_f16_sdwa v88, v91, v82 dst_sel:DWORD dst_unused:UNUSED_PAD src0_sel:DWORD src1_sel:WORD_1
	v_fmac_f16_e32 v92, v91, v82
	;; [unrolled: 2-line block ×6, first 2 shown]
	v_mul_f16_sdwa v99, v101, v85 dst_sel:DWORD dst_unused:UNUSED_PAD src0_sel:DWORD src1_sel:WORD_1
	s_waitcnt vmcnt(0)
	v_mul_f16_sdwa v104, v77, v81 dst_sel:DWORD dst_unused:UNUSED_PAD src0_sel:DWORD src1_sel:WORD_1
	v_fmac_f16_e32 v102, v101, v85
	v_mul_f16_sdwa v101, v103, v81 dst_sel:DWORD dst_unused:UNUSED_PAD src0_sel:DWORD src1_sel:WORD_1
	v_fma_f16 v71, v71, v79, -v105
	v_fma_f16 v72, v72, v82, -v88
	;; [unrolled: 1-line block ×7, first 2 shown]
	v_fmac_f16_e32 v104, v103, v81
	v_fma_f16 v77, v77, v81, -v101
	v_pack_b32_f16 v71, v71, v90
	v_pack_b32_f16 v72, v72, v92
	;; [unrolled: 1-line block ×8, first 2 shown]
	ds_write2_b32 v68, v71, v72 offset0:48 offset1:224
	ds_write2_b32 v78, v69, v74 offset0:48 offset1:224
	;; [unrolled: 1-line block ×4, first 2 shown]
	ds_write_b32 v39, v77 offset:6336
	s_waitcnt lgkmcnt(0)
	s_barrier
	buffer_gl0_inv
	ds_read2_b32 v[68:69], v39 offset1:176
	ds_read2_b32 v[70:71], v63 offset0:64 offset1:240
	ds_read2_b32 v[72:73], v67 offset0:32 offset1:208
	;; [unrolled: 1-line block ×3, first 2 shown]
	ds_read2_b32 v[76:77], v65 offset1:176
	s_waitcnt lgkmcnt(0)
	s_barrier
	buffer_gl0_inv
	v_pk_add_f16 v78, v68, v71 neg_lo:[0,1] neg_hi:[0,1]
	v_pk_add_f16 v72, v69, v72 neg_lo:[0,1] neg_hi:[0,1]
	;; [unrolled: 1-line block ×5, first 2 shown]
	v_pk_fma_f16 v77, v68, 2.0, v78 op_sel_hi:[1,0,1] neg_lo:[0,0,1] neg_hi:[0,0,1]
	v_pk_fma_f16 v71, v69, 2.0, v72 op_sel_hi:[1,0,1] neg_lo:[0,0,1] neg_hi:[0,0,1]
	v_pk_fma_f16 v79, v74, 2.0, v80 op_sel_hi:[1,0,1] neg_lo:[0,0,1] neg_hi:[0,0,1]
	v_pk_fma_f16 v75, v75, 2.0, v76 op_sel_hi:[1,0,1] neg_lo:[0,0,1] neg_hi:[0,0,1]
	v_pk_fma_f16 v81, v70, 2.0, v82 op_sel_hi:[1,0,1] neg_lo:[0,0,1] neg_hi:[0,0,1]
	ds_write_b64 v43, v[77:78]
	ds_write_b64 v28, v[71:72]
	;; [unrolled: 1-line block ×5, first 2 shown]
	s_waitcnt lgkmcnt(0)
	s_barrier
	buffer_gl0_inv
	ds_read2_b32 v[19:20], v39 offset1:176
	ds_read2_b32 v[68:69], v63 offset0:64 offset1:240
	ds_read2_b32 v[70:71], v67 offset0:32 offset1:208
	;; [unrolled: 1-line block ×3, first 2 shown]
	ds_read2_b32 v[74:75], v65 offset1:176
	s_waitcnt lgkmcnt(0)
	s_barrier
	buffer_gl0_inv
	v_lshrrev_b32_e32 v28, 16, v19
	v_lshrrev_b32_e32 v43, 16, v69
	;; [unrolled: 1-line block ×3, first 2 shown]
	v_mul_f16_sdwa v83, v21, v69 dst_sel:DWORD dst_unused:UNUSED_PAD src0_sel:WORD_1 src1_sel:DWORD
	v_lshrrev_b32_e32 v78, 16, v71
	v_mul_f16_sdwa v84, v21, v70 dst_sel:DWORD dst_unused:UNUSED_PAD src0_sel:WORD_1 src1_sel:DWORD
	v_lshrrev_b32_e32 v80, 16, v74
	;; [unrolled: 2-line block ×3, first 2 shown]
	v_mul_f16_sdwa v86, v21, v74 dst_sel:DWORD dst_unused:UNUSED_PAD src0_sel:WORD_1 src1_sel:DWORD
	v_mul_f16_sdwa v88, v21, v43 dst_sel:DWORD dst_unused:UNUSED_PAD src0_sel:WORD_1 src1_sel:DWORD
	v_fma_f16 v43, v21, v43, -v83
	v_mul_f16_sdwa v83, v21, v76 dst_sel:DWORD dst_unused:UNUSED_PAD src0_sel:WORD_1 src1_sel:DWORD
	v_fma_f16 v76, v21, v76, -v84
	;; [unrolled: 2-line block ×3, first 2 shown]
	v_mul_f16_sdwa v85, v21, v80 dst_sel:DWORD dst_unused:UNUSED_PAD src0_sel:WORD_1 src1_sel:DWORD
	v_mul_f16_sdwa v87, v21, v75 dst_sel:DWORD dst_unused:UNUSED_PAD src0_sel:WORD_1 src1_sel:DWORD
	v_fma_f16 v80, v21, v80, -v86
	v_mul_f16_sdwa v86, v21, v82 dst_sel:DWORD dst_unused:UNUSED_PAD src0_sel:WORD_1 src1_sel:DWORD
	v_fmac_f16_e32 v88, v21, v69
	v_lshrrev_b32_e32 v64, 16, v20
	v_fmac_f16_e32 v83, v21, v70
	v_lshrrev_b32_e32 v77, 16, v72
	;; [unrolled: 2-line block ×4, first 2 shown]
	v_fma_f16 v82, v21, v82, -v87
	v_fmac_f16_e32 v86, v21, v75
	v_sub_f16_e32 v21, v28, v43
	v_sub_f16_e32 v74, v19, v88
	;; [unrolled: 1-line block ×10, first 2 shown]
	v_fma_f16 v28, v28, 2.0, -v21
	v_fma_f16 v19, v19, 2.0, -v74
	;; [unrolled: 1-line block ×10, first 2 shown]
	v_pack_b32_f16 v21, v74, v21
	v_pack_b32_f16 v19, v19, v28
	;; [unrolled: 1-line block ×10, first 2 shown]
	ds_write2_b32 v23, v19, v21 offset1:2
	ds_write2_b32 v24, v20, v43 offset1:2
	;; [unrolled: 1-line block ×5, first 2 shown]
	s_waitcnt lgkmcnt(0)
	s_barrier
	buffer_gl0_inv
	ds_read2_b32 v[19:20], v39 offset1:176
	ds_read2_b32 v[23:24], v63 offset0:64 offset1:240
	ds_read2_b32 v[25:26], v67 offset0:32 offset1:208
	ds_read2_b32 v[27:28], v66 offset0:32 offset1:208
	ds_read2_b32 v[68:69], v65 offset1:176
	s_waitcnt lgkmcnt(0)
	s_barrier
	buffer_gl0_inv
	v_lshrrev_b32_e32 v21, 16, v19
	v_lshrrev_b32_e32 v43, 16, v24
	;; [unrolled: 1-line block ×3, first 2 shown]
	v_mul_f16_sdwa v77, v22, v24 dst_sel:DWORD dst_unused:UNUSED_PAD src0_sel:WORD_1 src1_sel:DWORD
	v_lshrrev_b32_e32 v72, 16, v26
	v_mul_f16_sdwa v78, v22, v25 dst_sel:DWORD dst_unused:UNUSED_PAD src0_sel:WORD_1 src1_sel:DWORD
	v_lshrrev_b32_e32 v74, 16, v68
	v_mul_f16_sdwa v79, v22, v26 dst_sel:DWORD dst_unused:UNUSED_PAD src0_sel:WORD_1 src1_sel:DWORD
	v_lshrrev_b32_e32 v76, 16, v69
	v_mul_f16_sdwa v80, v22, v68 dst_sel:DWORD dst_unused:UNUSED_PAD src0_sel:WORD_1 src1_sel:DWORD
	v_mul_f16_sdwa v82, v22, v43 dst_sel:DWORD dst_unused:UNUSED_PAD src0_sel:WORD_1 src1_sel:DWORD
	v_fma_f16 v43, v22, v43, -v77
	v_mul_f16_sdwa v77, v22, v70 dst_sel:DWORD dst_unused:UNUSED_PAD src0_sel:WORD_1 src1_sel:DWORD
	v_fma_f16 v70, v22, v70, -v78
	;; [unrolled: 2-line block ×3, first 2 shown]
	v_mul_f16_sdwa v79, v22, v74 dst_sel:DWORD dst_unused:UNUSED_PAD src0_sel:WORD_1 src1_sel:DWORD
	v_mul_f16_sdwa v81, v22, v69 dst_sel:DWORD dst_unused:UNUSED_PAD src0_sel:WORD_1 src1_sel:DWORD
	v_fma_f16 v74, v22, v74, -v80
	v_mul_f16_sdwa v80, v22, v76 dst_sel:DWORD dst_unused:UNUSED_PAD src0_sel:WORD_1 src1_sel:DWORD
	v_fmac_f16_e32 v82, v22, v24
	v_lshrrev_b32_e32 v64, 16, v20
	v_fmac_f16_e32 v77, v22, v25
	v_lshrrev_b32_e32 v71, 16, v27
	;; [unrolled: 2-line block ×4, first 2 shown]
	v_fma_f16 v76, v22, v76, -v81
	v_fmac_f16_e32 v80, v22, v69
	v_sub_f16_e32 v22, v21, v43
	v_sub_f16_e32 v68, v19, v82
	;; [unrolled: 1-line block ×10, first 2 shown]
	v_fma_f16 v21, v21, 2.0, -v22
	v_fma_f16 v19, v19, 2.0, -v68
	v_fma_f16 v64, v64, 2.0, -v24
	v_fma_f16 v20, v20, 2.0, -v69
	v_fma_f16 v71, v71, 2.0, -v25
	v_fma_f16 v27, v27, 2.0, -v70
	v_fma_f16 v73, v73, 2.0, -v26
	v_fma_f16 v28, v28, 2.0, -v72
	v_fma_f16 v75, v75, 2.0, -v43
	v_fma_f16 v23, v23, 2.0, -v74
	v_pack_b32_f16 v22, v68, v22
	v_pack_b32_f16 v19, v19, v21
	;; [unrolled: 1-line block ×10, first 2 shown]
	ds_write2_b32 v45, v19, v22 offset1:4
	ds_write2_b32 v46, v20, v24 offset1:4
	;; [unrolled: 1-line block ×5, first 2 shown]
	s_waitcnt lgkmcnt(0)
	s_barrier
	buffer_gl0_inv
	ds_read2_b32 v[19:20], v39 offset1:176
	ds_read2_b32 v[21:22], v63 offset0:64 offset1:240
	ds_read2_b32 v[23:24], v67 offset0:32 offset1:208
	;; [unrolled: 1-line block ×3, first 2 shown]
	ds_read2_b32 v[27:28], v65 offset1:176
	s_waitcnt lgkmcnt(0)
	s_barrier
	buffer_gl0_inv
	v_lshrrev_b32_e32 v43, 16, v19
	v_lshrrev_b32_e32 v45, 16, v22
	;; [unrolled: 1-line block ×3, first 2 shown]
	v_mul_f16_sdwa v71, v44, v22 dst_sel:DWORD dst_unused:UNUSED_PAD src0_sel:WORD_1 src1_sel:DWORD
	v_lshrrev_b32_e32 v49, 16, v24
	v_mul_f16_sdwa v72, v44, v23 dst_sel:DWORD dst_unused:UNUSED_PAD src0_sel:WORD_1 src1_sel:DWORD
	v_lshrrev_b32_e32 v68, 16, v27
	;; [unrolled: 2-line block ×3, first 2 shown]
	v_mul_f16_sdwa v74, v44, v27 dst_sel:DWORD dst_unused:UNUSED_PAD src0_sel:WORD_1 src1_sel:DWORD
	v_mul_f16_sdwa v76, v44, v45 dst_sel:DWORD dst_unused:UNUSED_PAD src0_sel:WORD_1 src1_sel:DWORD
	v_fma_f16 v45, v44, v45, -v71
	v_mul_f16_sdwa v71, v44, v47 dst_sel:DWORD dst_unused:UNUSED_PAD src0_sel:WORD_1 src1_sel:DWORD
	v_fma_f16 v47, v44, v47, -v72
	;; [unrolled: 2-line block ×3, first 2 shown]
	v_mul_f16_sdwa v73, v44, v68 dst_sel:DWORD dst_unused:UNUSED_PAD src0_sel:WORD_1 src1_sel:DWORD
	v_mul_f16_sdwa v75, v44, v28 dst_sel:DWORD dst_unused:UNUSED_PAD src0_sel:WORD_1 src1_sel:DWORD
	v_fma_f16 v68, v44, v68, -v74
	v_mul_f16_sdwa v74, v44, v70 dst_sel:DWORD dst_unused:UNUSED_PAD src0_sel:WORD_1 src1_sel:DWORD
	v_fmac_f16_e32 v76, v44, v22
	v_lshrrev_b32_e32 v46, 16, v20
	v_fmac_f16_e32 v71, v44, v23
	v_lshrrev_b32_e32 v48, 16, v25
	;; [unrolled: 2-line block ×4, first 2 shown]
	v_fma_f16 v70, v44, v70, -v75
	v_fmac_f16_e32 v74, v44, v28
	v_sub_f16_e32 v22, v43, v45
	v_sub_f16_e32 v44, v19, v76
	;; [unrolled: 1-line block ×10, first 2 shown]
	v_fma_f16 v43, v43, 2.0, -v22
	v_fma_f16 v19, v19, 2.0, -v44
	;; [unrolled: 1-line block ×10, first 2 shown]
	v_pack_b32_f16 v22, v44, v22
	v_pack_b32_f16 v19, v19, v43
	;; [unrolled: 1-line block ×10, first 2 shown]
	ds_write2_b32 v51, v19, v22 offset1:8
	ds_write2_b32 v52, v20, v23 offset1:8
	;; [unrolled: 1-line block ×5, first 2 shown]
	s_waitcnt lgkmcnt(0)
	s_barrier
	buffer_gl0_inv
	ds_read2_b32 v[54:55], v39 offset1:176
	ds_read2_b32 v[27:28], v63 offset0:64 offset1:240
	ds_read2_b32 v[19:20], v67 offset0:32 offset1:208
	;; [unrolled: 1-line block ×3, first 2 shown]
	ds_read2_b32 v[21:22], v65 offset1:176
	s_waitcnt lgkmcnt(0)
	s_barrier
	buffer_gl0_inv
	v_lshrrev_b32_e32 v23, 16, v54
	v_lshrrev_b32_e32 v24, 16, v28
	;; [unrolled: 1-line block ×4, first 2 shown]
	v_mul_f16_sdwa v49, v50, v19 dst_sel:DWORD dst_unused:UNUSED_PAD src0_sel:WORD_1 src1_sel:DWORD
	v_lshrrev_b32_e32 v45, 16, v21
	v_lshrrev_b32_e32 v46, 16, v22
	v_mul_f16_sdwa v48, v50, v28 dst_sel:DWORD dst_unused:UNUSED_PAD src0_sel:WORD_1 src1_sel:DWORD
	v_mul_f16_sdwa v65, v50, v24 dst_sel:DWORD dst_unused:UNUSED_PAD src0_sel:WORD_1 src1_sel:DWORD
	v_mul_f16_sdwa v68, v50, v26 dst_sel:DWORD dst_unused:UNUSED_PAD src0_sel:WORD_1 src1_sel:DWORD
	v_mul_f16_sdwa v52, v50, v20 dst_sel:DWORD dst_unused:UNUSED_PAD src0_sel:WORD_1 src1_sel:DWORD
	v_fma_f16 v26, v50, v26, -v49
	v_mul_f16_sdwa v49, v50, v43 dst_sel:DWORD dst_unused:UNUSED_PAD src0_sel:WORD_1 src1_sel:DWORD
	v_mul_f16_sdwa v53, v50, v21 dst_sel:DWORD dst_unused:UNUSED_PAD src0_sel:WORD_1 src1_sel:DWORD
	;; [unrolled: 1-line block ×5, first 2 shown]
	v_fma_f16 v24, v50, v24, -v48
	v_fmac_f16_e32 v65, v50, v28
	v_lshrrev_b32_e32 v25, 16, v55
	v_fmac_f16_e32 v68, v50, v19
	v_lshrrev_b32_e32 v44, 16, v66
	v_fma_f16 v43, v50, v43, -v52
	v_fmac_f16_e32 v49, v50, v20
	v_lshrrev_b32_e32 v47, 16, v67
	v_fma_f16 v48, v50, v45, -v53
	;; [unrolled: 3-line block ×3, first 2 shown]
	v_fmac_f16_e32 v70, v50, v22
	v_sub_f16_e32 v45, v23, v24
	v_sub_f16_e32 v20, v54, v65
	;; [unrolled: 1-line block ×10, first 2 shown]
	v_fma_f16 v43, v23, 2.0, -v45
	v_fma_f16 v19, v54, 2.0, -v20
	;; [unrolled: 1-line block ×10, first 2 shown]
	v_pack_b32_f16 v44, v20, v45
	v_pack_b32_f16 v66, v19, v43
	;; [unrolled: 1-line block ×10, first 2 shown]
	ds_write2_b32 v56, v66, v44 offset1:16
	ds_write2_b32 v57, v67, v54 offset1:16
	;; [unrolled: 1-line block ×5, first 2 shown]
	s_waitcnt lgkmcnt(0)
	s_barrier
	buffer_gl0_inv
	s_and_saveexec_b32 s0, vcc_lo
	s_cbranch_execz .LBB0_7
; %bb.6:
	v_add_nc_u32_e32 v23, 0x400, v39
	v_add_nc_u32_e32 v24, 0xe00, v39
	v_add_nc_u32_e32 v27, 0x1400, v39
	ds_read2_b32 v[19:20], v39 offset1:160
	ds_read2_b32 v[21:22], v63 offset1:160
	ds_read2_b32 v[25:26], v23 offset0:64 offset1:224
	ds_read2_b32 v[23:24], v24 offset0:64 offset1:224
	ds_read2_b32 v[27:28], v27 offset1:160
	ds_read_b32 v61, v39 offset:6400
	s_waitcnt lgkmcnt(3)
	v_lshrrev_b32_e32 v52, 16, v25
	v_lshrrev_b32_e32 v43, 16, v19
	;; [unrolled: 1-line block ×6, first 2 shown]
	s_waitcnt lgkmcnt(2)
	v_lshrrev_b32_e32 v47, 16, v23
	v_lshrrev_b32_e32 v48, 16, v24
	s_waitcnt lgkmcnt(1)
	v_lshrrev_b32_e32 v51, 16, v27
	v_lshrrev_b32_e32 v53, 16, v28
	s_waitcnt lgkmcnt(0)
	v_lshrrev_b32_e32 v62, 16, v61
.LBB0_7:
	s_or_b32 exec_lo, exec_lo, s0
	s_barrier
	buffer_gl0_inv
	s_and_saveexec_b32 s0, vcc_lo
	s_cbranch_execz .LBB0_9
; %bb.8:
	v_mul_f16_sdwa v54, v4, v45 dst_sel:DWORD dst_unused:UNUSED_PAD src0_sel:WORD_1 src1_sel:DWORD
	v_mul_f16_sdwa v44, v18, v62 dst_sel:DWORD dst_unused:UNUSED_PAD src0_sel:WORD_1 src1_sel:DWORD
	;; [unrolled: 1-line block ×5, first 2 shown]
	v_fmac_f16_e32 v54, v4, v20
	v_fmac_f16_e32 v44, v18, v61
	v_mul_f16_sdwa v20, v17, v53 dst_sel:DWORD dst_unused:UNUSED_PAD src0_sel:WORD_1 src1_sel:DWORD
	v_fma_f16 v18, v18, v62, -v55
	v_fma_f16 v55, v4, v45, -v56
	v_mul_f16_sdwa v4, v17, v28 dst_sel:DWORD dst_unused:UNUSED_PAD src0_sel:WORD_1 src1_sel:DWORD
	v_sub_f16_e32 v45, v54, v44
	v_fmac_f16_e32 v57, v5, v25
	v_fmac_f16_e32 v20, v17, v28
	v_mul_f16_sdwa v28, v5, v25 dst_sel:DWORD dst_unused:UNUSED_PAD src0_sel:WORD_1 src1_sel:DWORD
	v_fma_f16 v4, v17, v53, -v4
	v_mul_f16_sdwa v53, v6, v50 dst_sel:DWORD dst_unused:UNUSED_PAD src0_sel:WORD_1 src1_sel:DWORD
	v_mul_f16_sdwa v59, v3, v51 dst_sel:DWORD dst_unused:UNUSED_PAD src0_sel:WORD_1 src1_sel:DWORD
	;; [unrolled: 1-line block ×3, first 2 shown]
	v_mul_f16_e32 v56, 0xbb47, v45
	v_add_f16_e32 v58, v18, v55
	v_sub_f16_e32 v25, v57, v20
	v_fma_f16 v5, v5, v52, -v28
	v_fmac_f16_e32 v53, v6, v26
	v_fmac_f16_e32 v59, v3, v27
	v_mul_f16_sdwa v27, v3, v27 dst_sel:DWORD dst_unused:UNUSED_PAD src0_sel:WORD_1 src1_sel:DWORD
	v_mul_f16_sdwa v26, v6, v26 dst_sel:DWORD dst_unused:UNUSED_PAD src0_sel:WORD_1 src1_sel:DWORD
	;; [unrolled: 1-line block ×3, first 2 shown]
	v_fmac_f16_e32 v61, v7, v21
	v_mul_f16_sdwa v21, v7, v21 dst_sel:DWORD dst_unused:UNUSED_PAD src0_sel:WORD_1 src1_sel:DWORD
	v_fmamk_f16 v17, v58, 0x36a6, v56
	v_mul_f16_e32 v28, 0xba0c, v25
	v_add_f16_e32 v52, v4, v5
	v_sub_f16_e32 v63, v53, v59
	v_fma_f16 v3, v3, v51, -v27
	v_fma_f16 v6, v6, v50, -v26
	v_fmac_f16_e32 v62, v2, v24
	v_mul_f16_sdwa v24, v2, v24 dst_sel:DWORD dst_unused:UNUSED_PAD src0_sel:WORD_1 src1_sel:DWORD
	v_fma_f16 v7, v7, v49, -v21
	v_mul_f16_sdwa v49, v0, v46 dst_sel:DWORD dst_unused:UNUSED_PAD src0_sel:WORD_1 src1_sel:DWORD
	v_mul_f16_sdwa v51, v1, v47 dst_sel:DWORD dst_unused:UNUSED_PAD src0_sel:WORD_1 src1_sel:DWORD
	v_add_f16_e32 v17, v43, v17
	v_fmamk_f16 v60, v52, 0xb93d, v28
	v_mul_f16_e32 v26, 0x3482, v63
	v_add_f16_e32 v27, v3, v6
	v_sub_f16_e32 v50, v61, v62
	v_fma_f16 v2, v2, v48, -v24
	v_fmac_f16_e32 v49, v0, v22
	v_fmac_f16_e32 v51, v1, v23
	v_mul_f16_sdwa v23, v1, v23 dst_sel:DWORD dst_unused:UNUSED_PAD src0_sel:WORD_1 src1_sel:DWORD
	v_mul_f16_sdwa v22, v0, v22 dst_sel:DWORD dst_unused:UNUSED_PAD src0_sel:WORD_1 src1_sel:DWORD
	v_add_f16_e32 v17, v60, v17
	v_fmamk_f16 v21, v27, 0xbbad, v26
	v_mul_f16_e32 v24, 0x3beb, v50
	v_add_f16_e32 v48, v2, v7
	v_sub_f16_e32 v65, v49, v51
	v_fma_f16 v1, v1, v47, -v23
	v_fma_f16 v0, v0, v46, -v22
	v_add_f16_e32 v17, v21, v17
	v_fmamk_f16 v21, v48, 0xb08e, v24
	v_mul_f16_e32 v47, 0x3853, v65
	v_add_f16_e32 v60, v44, v54
	v_add_f16_e32 v68, v1, v0
	v_sub_f16_e32 v66, v5, v4
	v_add_f16_e32 v17, v21, v17
	v_sub_f16_e32 v21, v55, v18
	v_mul_f16_e32 v77, 0x3482, v25
	v_fmamk_f16 v72, v68, 0x3abb, v47
	v_add_f16_e32 v23, v20, v57
	v_mul_f16_e32 v46, 0xba0c, v66
	v_mul_f16_e32 v64, 0xbb47, v21
	v_sub_f16_e32 v67, v6, v3
	v_add_f16_e32 v17, v72, v17
	v_mul_f16_e32 v72, 0xbbeb, v45
	v_fmamk_f16 v81, v52, 0xbbad, v77
	v_fma_f16 v22, v60, 0x36a6, -v64
	v_mul_f16_e32 v82, 0x3b47, v63
	v_fma_f16 v69, v23, 0xb93d, -v46
	v_fmamk_f16 v76, v58, 0xb08e, v72
	v_add_f16_e32 v70, v59, v53
	v_add_f16_e32 v22, v19, v22
	v_mul_f16_e32 v71, 0x3482, v67
	v_mul_f16_e32 v84, 0xb853, v50
	v_add_f16_e32 v76, v43, v76
	v_mul_f16_e32 v86, 0xba0c, v65
	v_add_f16_e32 v22, v69, v22
	v_sub_f16_e32 v69, v7, v2
	v_fma_f16 v73, v70, 0xbbad, -v71
	v_add_f16_e32 v76, v81, v76
	v_fmamk_f16 v81, v27, 0x36a6, v82
	v_add_f16_e32 v74, v62, v61
	v_mul_f16_e32 v75, 0x3beb, v69
	v_add_f16_e32 v22, v73, v22
	v_sub_f16_e32 v73, v0, v1
	v_add_f16_e32 v76, v81, v76
	v_fmamk_f16 v81, v48, 0x3abb, v84
	v_mul_f16_e32 v89, 0xba0c, v45
	v_fma_f16 v78, v74, 0xb08e, -v75
	v_add_f16_e32 v79, v51, v49
	v_mul_f16_e32 v80, 0x3853, v73
	v_add_f16_e32 v76, v81, v76
	v_fmamk_f16 v81, v68, 0xb93d, v86
	v_mul_f16_e32 v91, 0x3beb, v25
	v_add_f16_e32 v22, v78, v22
	v_fma_f16 v78, v79, 0x3abb, -v80
	v_mul_f16_e32 v83, 0xbbeb, v21
	v_add_f16_e32 v76, v81, v76
	v_fmamk_f16 v81, v58, 0xb93d, v89
	v_fmamk_f16 v93, v52, 0xb08e, v91
	v_mul_f16_e32 v94, 0xb853, v63
	v_add_f16_e32 v22, v78, v22
	v_fma_f16 v78, v60, 0xb08e, -v83
	v_add_f16_e32 v81, v43, v81
	v_mul_f16_e32 v85, 0x3482, v66
	v_mul_f16_e32 v96, 0xb482, v50
	v_fma_f16 v56, v58, 0x36a6, -v56
	v_add_f16_e32 v78, v19, v78
	v_add_f16_e32 v81, v93, v81
	v_fmamk_f16 v93, v27, 0x3abb, v94
	v_fma_f16 v87, v23, 0xbbad, -v85
	v_mul_f16_e32 v88, 0x3b47, v67
	v_mul_f16_e32 v98, 0x3b47, v65
	v_add_f16_e32 v56, v43, v56
	v_add_f16_e32 v81, v93, v81
	v_fmamk_f16 v93, v48, 0xbbad, v96
	v_fma_f16 v28, v52, 0xb93d, -v28
	v_add_f16_e32 v78, v87, v78
	v_fma_f16 v87, v70, 0x36a6, -v88
	v_mul_f16_e32 v90, 0xb853, v69
	v_add_f16_e32 v81, v93, v81
	v_fmamk_f16 v93, v68, 0x36a6, v98
	v_mul_f16_e32 v101, 0xb482, v45
	v_add_f16_e32 v28, v28, v56
	v_fma_f16 v26, v27, 0xbbad, -v26
	v_add_f16_e32 v78, v87, v78
	v_fma_f16 v87, v74, 0x3abb, -v90
	v_mul_f16_e32 v92, 0xba0c, v73
	v_add_f16_e32 v81, v93, v81
	v_fmamk_f16 v93, v58, 0xbbad, v101
	v_mul_f16_e32 v103, 0x3853, v25
	v_fma_f16 v101, v58, 0xbbad, -v101
	v_fma_f16 v89, v58, 0xb93d, -v89
	;; [unrolled: 1-line block ×3, first 2 shown]
	v_add_f16_e32 v26, v26, v28
	v_fma_f16 v24, v48, 0xb08e, -v24
	v_mul_f16_e32 v28, 0x3abb, v58
	v_add_f16_e32 v78, v87, v78
	v_fma_f16 v87, v79, 0xb93d, -v92
	v_mul_f16_e32 v95, 0xba0c, v21
	v_add_f16_e32 v93, v43, v93
	v_fmamk_f16 v105, v52, 0x3abb, v103
	v_mul_f16_e32 v106, 0xba0c, v63
	v_add_f16_e32 v101, v43, v101
	v_fma_f16 v103, v52, 0x3abb, -v103
	v_add_f16_e32 v89, v43, v89
	v_fma_f16 v91, v52, 0xb08e, -v91
	;; [unrolled: 2-line block ×3, first 2 shown]
	v_add_f16_e32 v24, v24, v26
	v_fmamk_f16 v26, v45, 0x3853, v28
	v_mul_f16_e32 v52, 0x36a6, v52
	v_add_f16_e32 v78, v87, v78
	v_fma_f16 v87, v60, 0xb93d, -v95
	v_mul_f16_e32 v97, 0x3beb, v66
	v_add_f16_e32 v93, v105, v93
	v_fmamk_f16 v105, v27, 0xb93d, v106
	v_add_f16_e32 v101, v103, v101
	v_fma_f16 v103, v27, 0xb93d, -v106
	v_add_f16_e32 v89, v91, v89
	v_fma_f16 v91, v27, 0x3abb, -v94
	;; [unrolled: 2-line block ×3, first 2 shown]
	v_fma_f16 v47, v68, 0x3abb, -v47
	v_add_f16_e32 v26, v43, v26
	v_fmamk_f16 v58, v25, 0x3b47, v52
	v_mul_f16_e32 v27, 0xb08e, v27
	v_add_f16_e32 v54, v19, v54
	v_add_f16_e32 v87, v19, v87
	v_fma_f16 v99, v23, 0xb08e, -v97
	v_mul_f16_e32 v100, 0xb853, v67
	v_mul_f16_e32 v107, 0xb482, v21
	v_fmac_f16_e32 v64, 0x36a6, v60
	v_add_f16_e32 v24, v47, v24
	v_add_f16_e32 v26, v58, v26
	v_fmamk_f16 v47, v63, 0x3beb, v27
	v_mul_f16_e32 v21, 0xb853, v21
	v_add_f16_e32 v54, v57, v54
	v_add_f16_e32 v55, v55, v43
	;; [unrolled: 1-line block ×3, first 2 shown]
	v_fma_f16 v99, v70, 0x3abb, -v100
	v_mul_f16_e32 v102, 0xb482, v69
	v_add_f16_e32 v64, v19, v64
	v_fmac_f16_e32 v46, 0xb93d, v23
	v_add_f16_e32 v26, v47, v26
	v_fmamk_f16 v47, v60, 0x3abb, v21
	v_mul_f16_e32 v58, 0xbb47, v66
	v_add_f16_e32 v53, v53, v54
	v_add_f16_e32 v5, v5, v55
	;; [unrolled: 1-line block ×3, first 2 shown]
	v_fma_f16 v99, v74, 0xbbad, -v102
	v_mul_f16_e32 v104, 0x3b47, v73
	v_add_f16_e32 v46, v46, v64
	v_add_f16_e32 v47, v19, v47
	v_fmamk_f16 v64, v23, 0x36a6, v58
	v_mul_f16_e32 v54, 0xbbeb, v67
	v_add_f16_e32 v53, v61, v53
	v_add_f16_e32 v5, v6, v5
	;; [unrolled: 1-line block ×3, first 2 shown]
	v_fma_f16 v99, v79, 0x36a6, -v104
	v_mul_f16_e32 v108, 0x3b47, v50
	v_add_f16_e32 v47, v64, v47
	v_fmamk_f16 v55, v70, 0xb08e, v54
	v_mul_f16_e32 v6, 0xba0c, v69
	v_add_f16_e32 v49, v49, v53
	v_add_f16_e32 v5, v7, v5
	;; [unrolled: 1-line block ×3, first 2 shown]
	v_fma_f16 v99, v60, 0xbbad, -v107
	v_mul_f16_e32 v109, 0x3853, v66
	v_add_f16_e32 v93, v105, v93
	v_fmamk_f16 v105, v48, 0x36a6, v108
	v_mul_f16_e32 v110, 0xbbeb, v65
	v_add_f16_e32 v47, v55, v47
	v_fmamk_f16 v7, v74, 0xb93d, v6
	v_mul_f16_e32 v53, 0xb482, v73
	v_add_f16_e32 v49, v51, v49
	v_add_f16_e32 v0, v0, v5
	v_add_f16_e32 v99, v19, v99
	v_fma_f16 v111, v23, 0x3abb, -v109
	v_mul_f16_e32 v112, 0xba0c, v67
	v_add_f16_e32 v93, v105, v93
	v_fmamk_f16 v105, v68, 0xb08e, v110
	v_add_f16_e32 v5, v7, v47
	v_fmamk_f16 v7, v79, 0xbbad, v53
	v_add_f16_e32 v47, v62, v49
	v_add_f16_e32 v101, v103, v101
	v_fma_f16 v103, v48, 0x36a6, -v108
	v_add_f16_e32 v89, v91, v89
	v_fma_f16 v91, v48, 0xbbad, -v96
	v_fmac_f16_e32 v83, 0xb08e, v60
	v_add_f16_e32 v72, v77, v72
	v_fma_f16 v77, v48, 0x3abb, -v84
	v_mul_f16_e32 v48, 0xb93d, v48
	v_add_f16_e32 v0, v1, v0
	v_add_f16_e32 v99, v111, v99
	v_fma_f16 v111, v70, 0xb93d, -v112
	v_add_f16_e32 v93, v105, v93
	v_mul_f16_e32 v105, 0x3b47, v69
	v_fmac_f16_e32 v107, 0xbbad, v60
	v_fmac_f16_e32 v95, 0xb93d, v60
	;; [unrolled: 1-line block ×3, first 2 shown]
	v_add_f16_e32 v1, v7, v5
	v_add_f16_e32 v5, v59, v47
	v_fma_f16 v7, v60, 0x3abb, -v21
	v_add_f16_e32 v83, v19, v83
	v_fmac_f16_e32 v85, 0xbbad, v23
	v_fmamk_f16 v57, v50, 0x3a0c, v48
	v_add_f16_e32 v0, v2, v0
	v_add_f16_e32 v99, v111, v99
	v_fma_f16 v106, v74, 0x36a6, -v105
	v_mul_f16_e32 v111, 0xbbeb, v73
	v_add_f16_e32 v107, v19, v107
	v_fmac_f16_e32 v109, 0x3abb, v23
	v_add_f16_e32 v95, v19, v95
	v_fmac_f16_e32 v97, 0xb08e, v23
	;; [unrolled: 2-line block ×3, first 2 shown]
	v_add_f16_e32 v5, v20, v5
	v_add_f16_e32 v7, v19, v7
	v_fma_f16 v19, v23, 0x36a6, -v58
	v_add_f16_e32 v83, v85, v83
	v_fmac_f16_e32 v88, 0x36a6, v70
	v_fmac_f16_e32 v71, 0xbbad, v70
	v_add_f16_e32 v26, v57, v26
	v_mul_f16_e32 v57, 0xbbad, v68
	v_add_f16_e32 v0, v3, v0
	v_add_f16_e32 v99, v106, v99
	v_fma_f16 v106, v79, 0xb08e, -v111
	v_add_f16_e32 v107, v109, v107
	v_fmac_f16_e32 v112, 0xb93d, v70
	v_add_f16_e32 v95, v97, v95
	v_fmac_f16_e32 v100, 0x3abb, v70
	;; [unrolled: 2-line block ×3, first 2 shown]
	v_add_f16_e32 v3, v44, v5
	v_add_f16_e32 v5, v19, v7
	v_fma_f16 v7, v70, 0xb08e, -v54
	v_add_f16_e32 v56, v88, v83
	v_fmac_f16_e32 v90, 0x3abb, v74
	v_add_f16_e32 v46, v71, v46
	v_fmac_f16_e32 v75, 0xb08e, v74
	v_fmamk_f16 v51, v65, 0x3482, v57
	v_add_f16_e32 v0, v4, v0
	v_mul_u32_u24_e32 v4, 0x160, v42
	v_add_f16_e32 v101, v103, v101
	v_fma_f16 v103, v68, 0xb08e, -v110
	v_add_f16_e32 v99, v106, v99
	v_add_f16_e32 v106, v112, v107
	v_fmac_f16_e32 v105, 0x36a6, v74
	v_add_f16_e32 v95, v100, v95
	v_fmac_f16_e32 v102, 0xbbad, v74
	v_add_f16_e32 v2, v27, v2
	v_fmac_f16_e32 v48, 0xba0c, v50
	v_add_f16_e32 v5, v7, v5
	v_fma_f16 v6, v74, 0xb93d, -v6
	v_add_f16_e32 v72, v77, v72
	v_fma_f16 v77, v68, 0xb93d, -v86
	v_add_f16_e32 v56, v90, v56
	v_fmac_f16_e32 v92, 0xb93d, v79
	v_add_f16_e32 v46, v75, v46
	v_fmac_f16_e32 v80, 0x3abb, v79
	v_add_f16_e32 v26, v51, v26
	v_add_f16_e32 v0, v18, v0
	v_or_b32_e32 v4, v4, v41
	v_add_f16_e32 v101, v103, v101
	v_add_f16_e32 v103, v105, v106
	v_fmac_f16_e32 v111, 0xb08e, v79
	v_add_f16_e32 v89, v91, v89
	v_fma_f16 v91, v68, 0x36a6, -v98
	v_add_f16_e32 v82, v102, v95
	v_fmac_f16_e32 v104, 0x36a6, v79
	v_add_f16_e32 v2, v48, v2
	v_fmac_f16_e32 v57, 0xb482, v65
	v_add_f16_e32 v5, v6, v5
	v_fma_f16 v6, v79, 0xbbad, -v53
	v_add_f16_e32 v72, v77, v72
	v_lshlrev_b32_e32 v4, 2, v4
	v_pack_b32_f16 v0, v3, v0
	v_pack_b32_f16 v1, v1, v26
	v_add_f16_e32 v3, v80, v46
	v_add_f16_e32 v7, v92, v56
	v_add_f16_e32 v94, v111, v103
	v_add_f16_e32 v89, v91, v89
	v_add_f16_e32 v82, v104, v82
	v_add_f16_e32 v2, v57, v2
	v_add_f16_e32 v5, v6, v5
	ds_write2_b32 v4, v0, v1 offset1:32
	v_pack_b32_f16 v0, v3, v24
	v_pack_b32_f16 v1, v7, v72
	;; [unrolled: 1-line block ×8, first 2 shown]
	v_add_nc_u32_e32 v20, 0x400, v4
	v_pack_b32_f16 v2, v5, v2
	ds_write2_b32 v4, v0, v1 offset0:64 offset1:96
	ds_write2_b32 v4, v3, v6 offset0:128 offset1:160
	ds_write2_b32 v4, v7, v18 offset0:192 offset1:224
	ds_write2_b32 v20, v19, v17 offset1:32
	ds_write_b32 v4, v2 offset:1280
.LBB0_9:
	s_or_b32 exec_lo, exec_lo, s0
	v_add_nc_u32_e32 v3, 0x500, v39
	v_add_nc_u32_e32 v23, 0xa00, v39
	;; [unrolled: 1-line block ×4, first 2 shown]
	s_waitcnt lgkmcnt(0)
	s_barrier
	buffer_gl0_inv
	ds_read2_b32 v[0:1], v39 offset1:176
	ds_read2_b32 v[5:6], v3 offset0:32 offset1:208
	ds_read2_b32 v[17:18], v23 offset0:64 offset1:240
	;; [unrolled: 1-line block ×3, first 2 shown]
	ds_read2_b32 v[21:22], v2 offset1:176
	s_mov_b32 s2, 0x29e4129e
	s_mov_b32 s3, 0x3f429e41
	s_mul_i32 s7, s8, 0xfffff500
	s_waitcnt lgkmcnt(3)
	v_lshrrev_b32_e32 v25, 16, v5
	s_waitcnt lgkmcnt(2)
	v_lshrrev_b32_e32 v26, 16, v17
	s_waitcnt lgkmcnt(1)
	v_lshrrev_b32_e32 v27, 16, v19
	v_mul_f16_sdwa v44, v12, v5 dst_sel:DWORD dst_unused:UNUSED_PAD src0_sel:WORD_1 src1_sel:DWORD
	v_mul_f16_sdwa v46, v13, v17 dst_sel:DWORD dst_unused:UNUSED_PAD src0_sel:WORD_1 src1_sel:DWORD
	s_waitcnt lgkmcnt(0)
	v_lshrrev_b32_e32 v28, 16, v21
	v_lshrrev_b32_e32 v41, 16, v6
	;; [unrolled: 1-line block ×3, first 2 shown]
	v_mul_f16_sdwa v47, v14, v19 dst_sel:DWORD dst_unused:UNUSED_PAD src0_sel:WORD_1 src1_sel:DWORD
	v_mul_f16_sdwa v48, v12, v25 dst_sel:DWORD dst_unused:UNUSED_PAD src0_sel:WORD_1 src1_sel:DWORD
	v_fma_f16 v25, v12, v25, -v44
	v_mul_f16_sdwa v44, v13, v26 dst_sel:DWORD dst_unused:UNUSED_PAD src0_sel:WORD_1 src1_sel:DWORD
	v_fma_f16 v26, v13, v26, -v46
	v_mul_f16_sdwa v46, v14, v27 dst_sel:DWORD dst_unused:UNUSED_PAD src0_sel:WORD_1 src1_sel:DWORD
	v_mul_f16_sdwa v49, v15, v28 dst_sel:DWORD dst_unused:UNUSED_PAD src0_sel:WORD_1 src1_sel:DWORD
	v_fma_f16 v27, v14, v27, -v47
	v_fmac_f16_e32 v48, v12, v5
	v_fmac_f16_e32 v44, v13, v17
	;; [unrolled: 1-line block ×3, first 2 shown]
	v_mul_f16_sdwa v5, v15, v21 dst_sel:DWORD dst_unused:UNUSED_PAD src0_sel:WORD_1 src1_sel:DWORD
	v_mul_f16_sdwa v12, v8, v41 dst_sel:DWORD dst_unused:UNUSED_PAD src0_sel:WORD_1 src1_sel:DWORD
	;; [unrolled: 1-line block ×5, first 2 shown]
	v_lshrrev_b32_e32 v43, 16, v20
	v_lshrrev_b32_e32 v45, 16, v22
	v_fmac_f16_e32 v49, v15, v21
	v_fma_f16 v5, v15, v28, -v5
	v_fmac_f16_e32 v12, v8, v6
	v_fma_f16 v6, v8, v41, -v13
	v_fmac_f16_e32 v14, v9, v18
	v_fma_f16 v8, v9, v42, -v17
	v_add_f16_e32 v9, v44, v46
	v_lshrrev_b32_e32 v7, 16, v0
	v_mul_f16_sdwa v13, v10, v43 dst_sel:DWORD dst_unused:UNUSED_PAD src0_sel:WORD_1 src1_sel:DWORD
	v_mul_f16_sdwa v15, v10, v20 dst_sel:DWORD dst_unused:UNUSED_PAD src0_sel:WORD_1 src1_sel:DWORD
	v_mul_f16_sdwa v17, v11, v45 dst_sel:DWORD dst_unused:UNUSED_PAD src0_sel:WORD_1 src1_sel:DWORD
	v_add_f16_e32 v18, v0, v48
	v_fma_f16 v9, -0.5, v9, v0
	v_sub_f16_e32 v19, v25, v5
	v_add_f16_e32 v41, v48, v49
	v_fmac_f16_e32 v13, v10, v20
	v_fma_f16 v10, v10, v43, -v15
	v_fmac_f16_e32 v17, v11, v22
	v_add_f16_e32 v15, v18, v44
	v_fmamk_f16 v18, v19, 0xbb9c, v9
	v_sub_f16_e32 v20, v26, v27
	v_sub_f16_e32 v21, v48, v44
	;; [unrolled: 1-line block ×3, first 2 shown]
	v_mul_f16_sdwa v22, v11, v22 dst_sel:DWORD dst_unused:UNUSED_PAD src0_sel:WORD_1 src1_sel:DWORD
	v_fma_f16 v0, -0.5, v41, v0
	v_fmac_f16_e32 v9, 0x3b9c, v19
	v_add_f16_e32 v42, v7, v25
	v_fmac_f16_e32 v18, 0xb8b4, v20
	v_add_f16_e32 v21, v21, v28
	v_fma_f16 v11, v11, v45, -v22
	v_fmamk_f16 v22, v20, 0x3b9c, v0
	v_sub_f16_e32 v28, v44, v48
	v_sub_f16_e32 v41, v46, v49
	v_fmac_f16_e32 v9, 0x38b4, v20
	v_add_f16_e32 v43, v26, v27
	v_fmac_f16_e32 v0, 0xbb9c, v20
	v_add_f16_e32 v20, v42, v26
	v_fmac_f16_e32 v18, 0x34f2, v21
	v_fmac_f16_e32 v22, 0xb8b4, v19
	v_add_f16_e32 v28, v28, v41
	v_fma_f16 v41, -0.5, v43, v7
	v_sub_f16_e32 v42, v48, v49
	v_fmac_f16_e32 v9, 0x34f2, v21
	v_fmac_f16_e32 v0, 0x38b4, v19
	v_add_f16_e32 v19, v20, v27
	v_add_f16_e32 v21, v25, v5
	v_fmamk_f16 v20, v42, 0x3b9c, v41
	v_sub_f16_e32 v43, v44, v46
	v_sub_f16_e32 v44, v25, v26
	;; [unrolled: 1-line block ×3, first 2 shown]
	v_fmac_f16_e32 v7, -0.5, v21
	v_add_f16_e32 v19, v19, v5
	v_fmac_f16_e32 v41, 0xbb9c, v42
	v_sub_f16_e32 v25, v26, v25
	v_sub_f16_e32 v5, v27, v5
	v_add_f16_e32 v26, v14, v13
	v_fmac_f16_e32 v22, 0x34f2, v28
	v_fmac_f16_e32 v0, 0x34f2, v28
	;; [unrolled: 1-line block ×3, first 2 shown]
	v_add_f16_e32 v21, v44, v45
	v_fmamk_f16 v28, v43, 0xbb9c, v7
	v_fmac_f16_e32 v41, 0xb8b4, v43
	v_add_f16_e32 v5, v25, v5
	v_fmac_f16_e32 v7, 0x3b9c, v43
	v_add_f16_e32 v25, v1, v12
	v_fma_f16 v26, -0.5, v26, v1
	v_sub_f16_e32 v27, v6, v11
	v_fmac_f16_e32 v20, 0x34f2, v21
	v_fmac_f16_e32 v28, 0x38b4, v42
	;; [unrolled: 1-line block ×4, first 2 shown]
	v_add_f16_e32 v21, v25, v14
	v_fmamk_f16 v25, v27, 0xbb9c, v26
	v_sub_f16_e32 v42, v8, v10
	v_sub_f16_e32 v43, v12, v14
	;; [unrolled: 1-line block ×3, first 2 shown]
	v_fmac_f16_e32 v26, 0x3b9c, v27
	v_add_f16_e32 v45, v12, v17
	v_lshrrev_b32_e32 v24, 16, v1
	v_add_f16_e32 v21, v21, v13
	v_fmac_f16_e32 v25, 0xb8b4, v42
	v_add_f16_e32 v43, v43, v44
	v_fmac_f16_e32 v26, 0x38b4, v42
	v_fmac_f16_e32 v1, -0.5, v45
	v_sub_f16_e32 v44, v14, v12
	v_sub_f16_e32 v45, v13, v17
	v_fmac_f16_e32 v28, 0x34f2, v5
	v_fmac_f16_e32 v7, 0x34f2, v5
	v_add_f16_e32 v5, v21, v17
	v_fmac_f16_e32 v25, 0x34f2, v43
	v_fmac_f16_e32 v26, 0x34f2, v43
	v_fmamk_f16 v21, v42, 0x3b9c, v1
	v_add_f16_e32 v43, v8, v10
	v_fmac_f16_e32 v1, 0xbb9c, v42
	v_sub_f16_e32 v12, v12, v17
	v_add_f16_e32 v17, v44, v45
	v_add_f16_e32 v44, v6, v11
	;; [unrolled: 1-line block ×3, first 2 shown]
	v_fma_f16 v43, -0.5, v43, v24
	v_fmac_f16_e32 v21, 0xb8b4, v27
	v_fmac_f16_e32 v1, 0x38b4, v27
	v_sub_f16_e32 v13, v14, v13
	v_fmac_f16_e32 v24, -0.5, v44
	v_add_f16_e32 v27, v42, v8
	v_fmac_f16_e32 v21, 0x34f2, v17
	v_fmac_f16_e32 v1, 0x34f2, v17
	v_sub_f16_e32 v17, v6, v8
	v_fmamk_f16 v44, v13, 0xbb9c, v24
	v_sub_f16_e32 v6, v8, v6
	v_sub_f16_e32 v8, v10, v11
	v_fmac_f16_e32 v24, 0x3b9c, v13
	v_fmamk_f16 v42, v12, 0x3b9c, v43
	v_add_f16_e32 v14, v27, v10
	v_sub_f16_e32 v27, v11, v10
	v_fmac_f16_e32 v43, 0xbb9c, v12
	v_add_f16_e32 v15, v15, v46
	v_fmac_f16_e32 v44, 0x38b4, v12
	v_add_f16_e32 v6, v6, v8
	v_fmac_f16_e32 v24, 0xb8b4, v12
	v_fmac_f16_e32 v42, 0x38b4, v13
	v_add_f16_e32 v10, v17, v27
	v_fmac_f16_e32 v43, 0xb8b4, v13
	v_add_f16_e32 v15, v15, v49
	v_add_f16_e32 v8, v14, v11
	v_fmac_f16_e32 v44, 0x34f2, v6
	v_fmac_f16_e32 v24, 0x34f2, v6
	v_pack_b32_f16 v6, v18, v20
	v_fmac_f16_e32 v42, 0x34f2, v10
	v_fmac_f16_e32 v43, 0x34f2, v10
	v_pack_b32_f16 v10, v22, v28
	v_pack_b32_f16 v0, v0, v7
	;; [unrolled: 1-line block ×4, first 2 shown]
	ds_write_b32 v39, v6 offset:1408
	ds_write_b32 v39, v10 offset:2816
	;; [unrolled: 1-line block ×4, first 2 shown]
	v_pack_b32_f16 v0, v5, v8
	v_pack_b32_f16 v5, v25, v42
	;; [unrolled: 1-line block ×5, first 2 shown]
	ds_write2_b32 v39, v9, v0 offset1:176
	ds_write_b32 v39, v5 offset:2112
	ds_write_b32 v39, v6 offset:3520
	;; [unrolled: 1-line block ×4, first 2 shown]
	s_waitcnt lgkmcnt(0)
	s_barrier
	buffer_gl0_inv
	ds_read2_b32 v[5:6], v39 offset1:176
	s_waitcnt lgkmcnt(0)
	v_lshrrev_b32_e32 v7, 16, v5
	v_mul_f16_sdwa v0, v40, v7 dst_sel:DWORD dst_unused:UNUSED_PAD src0_sel:WORD_1 src1_sel:DWORD
	v_fmac_f16_e32 v0, v40, v5
	v_mul_f16_sdwa v5, v40, v5 dst_sel:DWORD dst_unused:UNUSED_PAD src0_sel:WORD_1 src1_sel:DWORD
	v_cvt_f32_f16_e32 v0, v0
	v_fma_f16 v5, v40, v7, -v5
	v_cvt_f64_f32_e32 v[0:1], v0
	v_cvt_f32_f16_e32 v5, v5
	v_cvt_f64_f32_e32 v[7:8], v5
	v_mul_f64 v[9:10], v[0:1], s[2:3]
	ds_read2_b32 v[0:1], v23 offset0:64 offset1:240
	v_mul_f64 v[7:8], v[7:8], s[2:3]
	s_waitcnt lgkmcnt(0)
	v_lshrrev_b32_e32 v17, 16, v1
	v_and_or_b32 v5, 0x1ff, v10, v9
	v_lshrrev_b32_e32 v9, 8, v10
	v_bfe_u32 v11, v10, 20, 11
	v_mul_f16_sdwa v18, v38, v17 dst_sel:DWORD dst_unused:UNUSED_PAD src0_sel:WORD_1 src1_sel:DWORD
	v_cmp_ne_u32_e32 vcc_lo, 0, v5
	v_and_or_b32 v7, 0x1ff, v8, v7
	v_lshrrev_b32_e32 v14, 8, v8
	v_bfe_u32 v15, v8, 20, 11
	v_fmac_f16_e32 v18, v38, v1
	v_cndmask_b32_e64 v5, 0, 1, vcc_lo
	v_cmp_ne_u32_e32 vcc_lo, 0, v7
	v_add_nc_u32_e32 v19, 0xfffffc10, v11
	v_mul_f16_sdwa v1, v38, v1 dst_sel:DWORD dst_unused:UNUSED_PAD src0_sel:WORD_1 src1_sel:DWORD
	v_and_or_b32 v9, 0xffe, v9, v5
	v_sub_nc_u32_e32 v5, 0x3f1, v11
	v_cndmask_b32_e64 v7, 0, 1, vcc_lo
	v_fma_f16 v1, v38, v17, -v1
	v_or_b32_e32 v12, 0x1000, v9
	v_med3_i32 v5, v5, 0, 13
	v_and_or_b32 v7, 0xffe, v14, v7
	v_sub_nc_u32_e32 v14, 0x3f1, v15
	v_cvt_f32_f16_e32 v1, v1
	v_lshrrev_b32_e32 v13, v5, v12
	v_or_b32_e32 v20, 0x1000, v7
	v_med3_i32 v21, v14, 0, 13
	v_cvt_f32_f16_e32 v14, v18
	v_lshl_or_b32 v18, v19, 12, v9
	v_lshlrev_b32_e32 v5, v5, v13
	v_lshrrev_b32_e32 v22, v21, v20
	v_cmp_ne_u32_e32 vcc_lo, v5, v12
	v_mad_u64_u32 v[11:12], null, s10, v16, 0
	v_lshlrev_b32_e32 v21, v21, v22
	v_cndmask_b32_e64 v5, 0, 1, vcc_lo
	v_cmp_gt_i32_e32 vcc_lo, 1, v19
	v_or_b32_e32 v5, v13, v5
	v_cvt_f64_f32_e32 v[13:14], v14
	v_cndmask_b32_e32 v18, v18, v5, vcc_lo
	v_cmp_ne_u32_e32 vcc_lo, v21, v20
	v_mov_b32_e32 v5, v12
	v_add_nc_u32_e32 v21, 0xfffffc10, v15
	v_and_b32_e32 v12, 7, v18
	v_cndmask_b32_e64 v20, 0, 1, vcc_lo
	v_mad_u64_u32 v[15:16], null, s11, v16, v[5:6]
	v_lshrrev_b32_e32 v18, 2, v18
	v_cmp_lt_i32_e32 vcc_lo, 5, v12
	v_cmp_eq_u32_e64 s0, 3, v12
	v_or_b32_e32 v5, v22, v20
	v_lshl_or_b32 v16, v21, 12, v7
	v_cmp_gt_i32_e64 s1, 1, v21
	s_or_b32 vcc_lo, s0, vcc_lo
	v_mul_f64 v[12:13], v[13:14], s[2:3]
	v_add_co_ci_u32_e32 v14, vcc_lo, 0, v18, vcc_lo
	v_cndmask_b32_e64 v5, v16, v5, s1
	v_cmp_ne_u32_e32 vcc_lo, 0, v9
	v_cmp_eq_u32_e64 s1, 0x40f, v19
	v_and_b32_e32 v16, 7, v5
	v_cndmask_b32_e64 v9, 0, 1, vcc_lo
	v_cmp_gt_i32_e32 vcc_lo, 31, v19
	v_cmp_eq_u32_e64 s0, 3, v16
	v_lshl_or_b32 v9, v9, 9, 0x7c00
	v_cndmask_b32_e32 v14, 0x7c00, v14, vcc_lo
	v_cmp_lt_i32_e32 vcc_lo, 5, v16
	v_cvt_f64_f32_e32 v[16:17], v1
	v_lshrrev_b32_e32 v1, 2, v5
	v_cndmask_b32_e64 v5, v14, v9, s1
	s_or_b32 vcc_lo, s0, vcc_lo
	v_and_or_b32 v12, 0x1ff, v13, v12
	v_add_co_ci_u32_e32 v1, vcc_lo, 0, v1, vcc_lo
	v_cmp_ne_u32_e32 vcc_lo, 0, v7
	v_lshrrev_b32_e32 v14, 16, v10
	v_mad_u64_u32 v[9:10], null, s8, v37, 0
	v_lshrrev_b32_e32 v18, 8, v13
	v_cndmask_b32_e64 v7, 0, 1, vcc_lo
	v_cmp_gt_i32_e32 vcc_lo, 31, v21
	v_bfe_u32 v20, v13, 20, 11
	v_and_or_b32 v5, 0x8000, v14, v5
	v_lshrrev_b32_e32 v13, 16, v13
	v_lshl_or_b32 v7, v7, 9, 0x7c00
	v_cndmask_b32_e32 v1, 0x7c00, v1, vcc_lo
	v_cmp_ne_u32_e32 vcc_lo, 0, v12
	v_and_b32_e32 v5, 0xffff, v5
	v_mul_f64 v[16:17], v[16:17], s[2:3]
	v_cndmask_b32_e64 v12, 0, 1, vcc_lo
	v_cmp_eq_u32_e32 vcc_lo, 0x40f, v21
	v_lshrrev_b32_e32 v21, 16, v6
	v_and_or_b32 v18, 0xffe, v18, v12
	v_cndmask_b32_e32 v19, v1, v7, vcc_lo
	v_mov_b32_e32 v1, v10
	v_sub_nc_u32_e32 v12, 0x3f1, v20
	v_lshrrev_b32_e32 v10, 16, v8
	v_mad_u64_u32 v[7:8], null, s9, v37, v[1:2]
	v_or_b32_e32 v1, 0x1000, v18
	v_med3_i32 v8, v12, 0, 13
	v_and_or_b32 v14, 0x8000, v10, v19
	v_mov_b32_e32 v12, v15
	v_mul_f16_sdwa v15, v36, v21 dst_sel:DWORD dst_unused:UNUSED_PAD src0_sel:WORD_1 src1_sel:DWORD
	v_lshrrev_b32_e32 v19, v8, v1
	v_mov_b32_e32 v10, v7
	v_lshl_or_b32 v5, v14, 16, v5
	v_fmac_f16_e32 v15, v36, v6
	v_add_nc_u32_e32 v14, 0xfffffc10, v20
	v_lshlrev_b32_e32 v22, v8, v19
	v_lshlrev_b64 v[7:8], 2, v[11:12]
	v_and_or_b32 v11, 0x1ff, v17, v16
	v_cvt_f32_f16_e32 v12, v15
	v_lshrrev_b32_e32 v16, 8, v17
	v_cmp_ne_u32_e32 vcc_lo, v22, v1
	v_bfe_u32 v20, v17, 20, 11
	v_mul_f16_sdwa v6, v36, v6 dst_sel:DWORD dst_unused:UNUSED_PAD src0_sel:WORD_1 src1_sel:DWORD
	v_cndmask_b32_e64 v1, 0, 1, vcc_lo
	v_cmp_ne_u32_e32 vcc_lo, 0, v11
	v_cvt_f64_f32_e32 v[11:12], v12
	v_fma_f16 v6, v36, v21, -v6
	v_or_b32_e32 v1, v19, v1
	v_cndmask_b32_e64 v15, 0, 1, vcc_lo
	v_add_co_u32 v22, vcc_lo, s4, v7
	v_add_co_ci_u32_e32 v23, vcc_lo, s5, v8, vcc_lo
	v_lshl_or_b32 v19, v14, 12, v18
	v_and_or_b32 v15, 0xffe, v16, v15
	v_sub_nc_u32_e32 v16, 0x3f1, v20
	v_cmp_gt_i32_e32 vcc_lo, 1, v14
	v_lshlrev_b64 v[7:8], 2, v[9:10]
	v_cvt_f32_f16_e32 v6, v6
	s_mul_hi_u32 s4, s8, 0xdc0
	v_med3_i32 v16, v16, 0, 13
	v_cndmask_b32_e32 v1, v19, v1, vcc_lo
	v_or_b32_e32 v19, 0x1000, v15
	v_add_co_u32 v7, vcc_lo, v22, v7
	v_add_co_ci_u32_e32 v8, vcc_lo, v23, v8, vcc_lo
	v_lshrrev_b32_e32 v22, v16, v19
	v_and_b32_e32 v23, 7, v1
	v_mul_f64 v[9:10], v[11:12], s[2:3]
	global_store_dword v[7:8], v5, off
	v_lshrrev_b32_e32 v1, 2, v1
	v_lshlrev_b32_e32 v5, v16, v22
	v_cmp_lt_i32_e32 vcc_lo, 5, v23
	v_cmp_eq_u32_e64 s0, 3, v23
	v_add_nc_u32_e32 v16, 0xfffffc10, v20
	s_mul_i32 s5, s8, 0xdc0
	v_cmp_ne_u32_e64 s1, v5, v19
	s_or_b32 vcc_lo, s0, vcc_lo
	v_lshl_or_b32 v12, v16, 12, v15
	v_add_co_ci_u32_e32 v1, vcc_lo, 0, v1, vcc_lo
	v_cndmask_b32_e64 v5, 0, 1, s1
	v_cmp_ne_u32_e32 vcc_lo, 0, v18
	v_or_b32_e32 v11, v22, v5
	v_cndmask_b32_e64 v18, 0, 1, vcc_lo
	v_cmp_gt_i32_e32 vcc_lo, 1, v16
	v_cvt_f64_f32_e32 v[5:6], v6
	v_and_or_b32 v9, 0x1ff, v10, v9
	v_bfe_u32 v21, v10, 20, 11
	v_lshrrev_b32_e32 v20, 8, v10
	v_cndmask_b32_e32 v19, v12, v11, vcc_lo
	v_cmp_gt_i32_e32 vcc_lo, 31, v14
	v_lshl_or_b32 v11, v18, 9, 0x7c00
	v_lshrrev_b32_e32 v10, 16, v10
	v_and_b32_e32 v18, 7, v19
	v_cndmask_b32_e32 v1, 0x7c00, v1, vcc_lo
	v_cmp_ne_u32_e32 vcc_lo, 0, v9
	v_cmp_eq_u32_e64 s0, 3, v18
	v_cndmask_b32_e64 v9, 0, 1, vcc_lo
	v_cmp_eq_u32_e32 vcc_lo, 0x40f, v14
	v_sub_nc_u32_e32 v14, 0x3f1, v21
	v_and_or_b32 v9, 0xffe, v20, v9
	v_cndmask_b32_e32 v1, v1, v11, vcc_lo
	ds_read2_b32 v[11:12], v4 offset0:32 offset1:208
	v_cmp_lt_i32_e32 vcc_lo, 5, v18
	v_mul_f64 v[4:5], v[5:6], s[2:3]
	v_lshrrev_b32_e32 v18, 2, v19
	v_med3_i32 v6, v14, 0, 13
	v_or_b32_e32 v19, 0x1000, v9
	s_or_b32 vcc_lo, s0, vcc_lo
	v_and_or_b32 v1, 0x8000, v13, v1
	v_add_co_ci_u32_e32 v14, vcc_lo, 0, v18, vcc_lo
	v_cmp_ne_u32_e32 vcc_lo, 0, v15
	v_lshrrev_b32_e32 v18, v6, v19
	v_and_b32_e32 v1, 0xffff, v1
	s_mul_i32 s0, s9, 0xdc0
	v_cndmask_b32_e64 v15, 0, 1, vcc_lo
	v_cmp_gt_i32_e32 vcc_lo, 31, v16
	v_lshlrev_b32_e32 v6, v6, v18
	s_add_i32 s4, s4, s0
	v_lshl_or_b32 v15, v15, 9, 0x7c00
	v_cndmask_b32_e32 v14, 0x7c00, v14, vcc_lo
	s_waitcnt lgkmcnt(0)
	v_lshrrev_b32_e32 v20, 16, v11
	v_cmp_eq_u32_e32 vcc_lo, 0x40f, v16
	v_and_or_b32 v4, 0x1ff, v5, v4
	v_cndmask_b32_e32 v13, v14, v15, vcc_lo
	v_mul_f16_sdwa v15, v35, v20 dst_sel:DWORD dst_unused:UNUSED_PAD src0_sel:WORD_1 src1_sel:DWORD
	v_cmp_ne_u32_e32 vcc_lo, v6, v19
	v_lshrrev_b32_e32 v14, 16, v17
	v_add_nc_u32_e32 v17, 0xfffffc10, v21
	v_fmac_f16_e32 v15, v35, v11
	v_cndmask_b32_e64 v6, 0, 1, vcc_lo
	v_cmp_ne_u32_e32 vcc_lo, 0, v4
	v_and_or_b32 v16, 0x8000, v14, v13
	v_lshl_or_b32 v13, v17, 12, v9
	v_cvt_f32_f16_e32 v14, v15
	v_or_b32_e32 v6, v18, v6
	v_cndmask_b32_e64 v4, 0, 1, vcc_lo
	v_lshrrev_b32_e32 v15, 8, v5
	v_bfe_u32 v18, v5, 20, 11
	v_cmp_gt_i32_e32 vcc_lo, 1, v17
	v_lshl_or_b32 v1, v16, 16, v1
	v_mul_f16_sdwa v11, v35, v11 dst_sel:DWORD dst_unused:UNUSED_PAD src0_sel:WORD_1 src1_sel:DWORD
	v_and_or_b32 v19, 0xffe, v15, v4
	v_sub_nc_u32_e32 v4, 0x3f1, v18
	v_cndmask_b32_e32 v6, v13, v6, vcc_lo
	v_cvt_f64_f32_e32 v[13:14], v14
	v_fma_f16 v11, v35, v20, -v11
	v_or_b32_e32 v21, 0x1000, v19
	v_med3_i32 v4, v4, 0, 13
	v_and_b32_e32 v15, 7, v6
	v_lshrrev_b32_e32 v6, 2, v6
	v_cvt_f32_f16_e32 v11, v11
	v_add_nc_u32_e32 v18, 0xfffffc10, v18
	v_lshrrev_b32_e32 v16, v4, v21
	v_cmp_lt_i32_e32 vcc_lo, 5, v15
	v_cmp_eq_u32_e64 s0, 3, v15
	v_lshrrev_b32_e32 v5, 16, v5
	v_lshl_or_b32 v20, v18, 12, v19
	v_lshlrev_b32_e32 v4, v4, v16
	s_or_b32 vcc_lo, s0, vcc_lo
	v_add_co_ci_u32_e32 v6, vcc_lo, 0, v6, vcc_lo
	v_cmp_ne_u32_e32 vcc_lo, v4, v21
	v_mul_f64 v[13:14], v[13:14], s[2:3]
	v_cndmask_b32_e64 v4, 0, 1, vcc_lo
	v_cmp_ne_u32_e32 vcc_lo, 0, v9
	v_or_b32_e32 v4, v16, v4
	v_cndmask_b32_e64 v9, 0, 1, vcc_lo
	v_cmp_gt_i32_e32 vcc_lo, 31, v17
	v_cvt_f64_f32_e32 v[15:16], v11
	v_lshl_or_b32 v9, v9, 9, 0x7c00
	v_cndmask_b32_e32 v11, 0x7c00, v6, vcc_lo
	v_cmp_gt_i32_e32 vcc_lo, 1, v18
	v_cndmask_b32_e32 v20, v20, v4, vcc_lo
	v_add_co_u32 v6, vcc_lo, v7, s5
	v_add_co_ci_u32_e32 v7, vcc_lo, s4, v8, vcc_lo
	v_cmp_eq_u32_e32 vcc_lo, 0x40f, v17
	v_and_b32_e32 v8, 7, v20
	ds_read2_b32 v[3:4], v3 offset0:32 offset1:208
	v_cndmask_b32_e32 v11, v11, v9, vcc_lo
	v_and_or_b32 v9, 0x1ff, v14, v13
	v_cmp_lt_i32_e32 vcc_lo, 5, v8
	v_cmp_eq_u32_e64 s0, 3, v8
	v_lshrrev_b32_e32 v13, 2, v20
	v_lshrrev_b32_e32 v20, 8, v14
	v_cmp_ne_u32_e64 s1, 0, v9
	v_mul_f64 v[8:9], v[15:16], s[2:3]
	s_or_b32 vcc_lo, s0, vcc_lo
	v_bfe_u32 v15, v14, 20, 11
	v_add_co_ci_u32_e32 v13, vcc_lo, 0, v13, vcc_lo
	v_cndmask_b32_e64 v17, 0, 1, s1
	v_cmp_ne_u32_e32 vcc_lo, 0, v19
	v_and_or_b32 v10, 0x8000, v10, v11
	s_mul_hi_u32 s0, s8, 0xfffff500
	s_mul_i32 s1, s9, 0xfffff500
	v_and_or_b32 v19, 0xffe, v20, v17
	v_cndmask_b32_e64 v16, 0, 1, vcc_lo
	s_waitcnt lgkmcnt(0)
	v_lshrrev_b32_e32 v20, 16, v3
	v_cmp_gt_i32_e32 vcc_lo, 31, v18
	v_sub_nc_u32_e32 v17, 0x3f1, v15
	v_or_b32_e32 v21, 0x1000, v19
	v_lshl_or_b32 v16, v16, 9, 0x7c00
	v_mul_f16_sdwa v22, v34, v20 dst_sel:DWORD dst_unused:UNUSED_PAD src0_sel:WORD_1 src1_sel:DWORD
	v_cndmask_b32_e32 v13, 0x7c00, v13, vcc_lo
	v_cmp_eq_u32_e32 vcc_lo, 0x40f, v18
	v_med3_i32 v17, v17, 0, 13
	s_sub_i32 s6, s0, s8
	v_and_or_b32 v8, 0x1ff, v9, v8
	v_fmac_f16_e32 v22, v34, v3
	v_cndmask_b32_e32 v13, v13, v16, vcc_lo
	v_lshrrev_b32_e32 v16, v17, v21
	v_lshrrev_b32_e32 v18, 8, v9
	v_cmp_ne_u32_e32 vcc_lo, 0, v8
	v_mul_f16_sdwa v3, v34, v3 dst_sel:DWORD dst_unused:UNUSED_PAD src0_sel:WORD_1 src1_sel:DWORD
	v_and_or_b32 v5, 0x8000, v5, v13
	v_and_b32_e32 v13, 0xffff, v10
	v_cvt_f32_f16_e32 v10, v22
	v_lshlrev_b32_e32 v17, v17, v16
	v_cndmask_b32_e64 v8, 0, 1, vcc_lo
	v_bfe_u32 v22, v9, 20, 11
	v_lshl_or_b32 v5, v5, 16, v13
	v_cvt_f64_f32_e32 v[10:11], v10
	v_cmp_ne_u32_e32 vcc_lo, v17, v21
	v_add_nc_u32_e32 v21, 0xfffffc10, v15
	v_and_or_b32 v8, 0xffe, v18, v8
	v_sub_nc_u32_e32 v15, 0x3f1, v22
	s_add_i32 s6, s6, s1
	v_cndmask_b32_e64 v17, 0, 1, vcc_lo
	v_cmp_gt_i32_e32 vcc_lo, 1, v21
	v_or_b32_e32 v18, 0x1000, v8
	v_med3_i32 v15, v15, 0, 13
	v_fma_f16 v3, v34, v20, -v3
	v_or_b32_e32 v16, v16, v17
	v_lshl_or_b32 v17, v21, 12, v19
	v_add_nc_u32_e32 v20, 0xfffffc10, v22
	v_lshrrev_b32_e32 v23, v15, v18
	v_cvt_f32_f16_e32 v3, v3
	v_cndmask_b32_e32 v17, v17, v16, vcc_lo
	v_lshlrev_b32_e32 v24, v15, v23
	v_add_co_u32 v15, vcc_lo, v6, s7
	v_and_b32_e32 v13, 7, v17
	v_mul_f64 v[10:11], v[10:11], s[2:3]
	v_cmp_ne_u32_e64 s0, v24, v18
	v_add_co_ci_u32_e32 v16, vcc_lo, s6, v7, vcc_lo
	v_cmp_lt_i32_e32 vcc_lo, 5, v13
	global_store_dword v[6:7], v1, off
	global_store_dword v[15:16], v5, off
	v_cndmask_b32_e64 v18, 0, 1, s0
	v_cmp_eq_u32_e64 s0, 3, v13
	v_lshrrev_b32_e32 v13, 2, v17
	v_or_b32_e32 v22, v23, v18
	s_or_b32 vcc_lo, s0, vcc_lo
	v_cvt_f64_f32_e32 v[17:18], v3
	v_add_co_ci_u32_e32 v3, vcc_lo, 0, v13, vcc_lo
	v_cmp_ne_u32_e32 vcc_lo, 0, v19
	v_lshl_or_b32 v23, v20, 12, v8
	v_cndmask_b32_e64 v13, 0, 1, vcc_lo
	v_cmp_gt_i32_e32 vcc_lo, 1, v20
	v_and_or_b32 v10, 0x1ff, v11, v10
	v_bfe_u32 v24, v11, 20, 11
	v_lshl_or_b32 v13, v13, 9, 0x7c00
	v_cndmask_b32_e32 v19, v23, v22, vcc_lo
	v_cmp_gt_i32_e32 vcc_lo, 31, v21
	v_lshrrev_b32_e32 v23, 8, v11
	v_lshrrev_b32_e32 v11, 16, v11
	v_and_b32_e32 v22, 7, v19
	v_cndmask_b32_e32 v3, 0x7c00, v3, vcc_lo
	v_cmp_ne_u32_e32 vcc_lo, 0, v10
	v_cmp_eq_u32_e64 s0, 3, v22
	v_cndmask_b32_e64 v10, 0, 1, vcc_lo
	v_cmp_eq_u32_e32 vcc_lo, 0x40f, v21
	v_lshrrev_b32_e32 v21, 16, v14
	v_and_or_b32 v10, 0xffe, v23, v10
	v_cndmask_b32_e32 v3, v3, v13, vcc_lo
	v_cmp_lt_i32_e32 vcc_lo, 5, v22
	v_mul_f64 v[13:14], v[17:18], s[2:3]
	v_lshrrev_b32_e32 v18, 2, v19
	v_sub_nc_u32_e32 v23, 0x3f1, v24
	v_or_b32_e32 v19, 0x1000, v10
	s_or_b32 vcc_lo, s0, vcc_lo
	v_lshrrev_b32_e32 v17, 16, v12
	v_add_co_ci_u32_e32 v18, vcc_lo, 0, v18, vcc_lo
	v_med3_i32 v22, v23, 0, 13
	v_cmp_ne_u32_e32 vcc_lo, 0, v8
	v_mul_f16_sdwa v23, v33, v17 dst_sel:DWORD dst_unused:UNUSED_PAD src0_sel:WORD_1 src1_sel:DWORD
	v_and_or_b32 v3, 0x8000, v21, v3
	v_lshrrev_b32_e32 v25, v22, v19
	v_cndmask_b32_e64 v8, 0, 1, vcc_lo
	v_cmp_gt_i32_e32 vcc_lo, 31, v20
	v_fmac_f16_e32 v23, v33, v12
	v_and_b32_e32 v3, 0xffff, v3
	v_lshlrev_b32_e32 v21, v22, v25
	v_lshl_or_b32 v8, v8, 9, 0x7c00
	v_cndmask_b32_e32 v18, 0x7c00, v18, vcc_lo
	v_cmp_eq_u32_e32 vcc_lo, 0x40f, v20
	v_and_or_b32 v13, 0x1ff, v14, v13
	v_cvt_f32_f16_e32 v22, v23
	v_lshrrev_b32_e32 v20, 16, v9
	v_bfe_u32 v23, v14, 20, 11
	v_cndmask_b32_e32 v18, v18, v8, vcc_lo
	v_cmp_ne_u32_e32 vcc_lo, v21, v19
	v_cvt_f64_f32_e32 v[8:9], v22
	v_add_nc_u32_e32 v21, 0xfffffc10, v24
	v_lshrrev_b32_e32 v22, 8, v14
	v_and_or_b32 v18, 0x8000, v20, v18
	v_cndmask_b32_e64 v19, 0, 1, vcc_lo
	v_cmp_ne_u32_e32 vcc_lo, 0, v13
	v_lshl_or_b32 v20, v21, 12, v10
	v_mul_f16_sdwa v12, v33, v12 dst_sel:DWORD dst_unused:UNUSED_PAD src0_sel:WORD_1 src1_sel:DWORD
	v_lshl_or_b32 v1, v18, 16, v3
	v_or_b32_e32 v19, v25, v19
	v_cndmask_b32_e64 v13, 0, 1, vcc_lo
	v_cmp_gt_i32_e32 vcc_lo, 1, v21
	v_fma_f16 v12, v33, v17, -v12
	v_lshrrev_b32_e32 v14, 16, v14
	v_and_or_b32 v13, 0xffe, v22, v13
	v_sub_nc_u32_e32 v22, 0x3f1, v23
	v_cndmask_b32_e32 v19, v20, v19, vcc_lo
	v_add_co_u32 v7, vcc_lo, v15, s5
	v_or_b32_e32 v20, 0x1000, v13
	v_med3_i32 v22, v22, 0, 13
	v_and_b32_e32 v3, 7, v19
	v_mul_f64 v[5:6], v[8:9], s[2:3]
	v_add_co_ci_u32_e32 v8, vcc_lo, s4, v16, vcc_lo
	v_lshrrev_b32_e32 v18, v22, v20
	v_cmp_lt_i32_e32 vcc_lo, 5, v3
	v_cmp_eq_u32_e64 s0, 3, v3
	v_lshrrev_b32_e32 v3, 2, v19
	v_cvt_f32_f16_e32 v12, v12
	v_lshlrev_b32_e32 v9, v22, v18
	v_add_nc_u32_e32 v15, 0xfffffc10, v23
	s_or_b32 vcc_lo, s0, vcc_lo
	global_store_dword v[7:8], v1, off
	v_add_co_ci_u32_e32 v3, vcc_lo, 0, v3, vcc_lo
	v_cmp_ne_u32_e64 s1, v9, v20
	v_cmp_ne_u32_e32 vcc_lo, 0, v10
	v_lshl_or_b32 v17, v15, 12, v13
	v_cndmask_b32_e64 v9, 0, 1, s1
	v_and_or_b32 v5, 0x1ff, v6, v5
	v_bfe_u32 v19, v6, 20, 11
	v_or_b32_e32 v16, v18, v9
	v_cvt_f64_f32_e32 v[9:10], v12
	v_cndmask_b32_e64 v18, 0, 1, vcc_lo
	v_cmp_gt_i32_e32 vcc_lo, 1, v15
	v_cndmask_b32_e32 v12, v17, v16, vcc_lo
	v_cmp_gt_i32_e32 vcc_lo, 31, v21
	v_lshl_or_b32 v16, v18, 9, 0x7c00
	v_lshrrev_b32_e32 v18, 8, v6
	v_lshrrev_b32_e32 v6, 16, v6
	v_and_b32_e32 v17, 7, v12
	v_cndmask_b32_e32 v3, 0x7c00, v3, vcc_lo
	v_cmp_ne_u32_e32 vcc_lo, 0, v5
	v_lshrrev_b32_e32 v12, 2, v12
	v_cmp_eq_u32_e64 s0, 3, v17
	v_cndmask_b32_e64 v5, 0, 1, vcc_lo
	v_cmp_eq_u32_e32 vcc_lo, 0x40f, v21
	v_mul_f64 v[9:10], v[9:10], s[2:3]
	v_and_or_b32 v5, 0xffe, v18, v5
	v_cndmask_b32_e32 v3, v3, v16, vcc_lo
	v_cmp_lt_i32_e32 vcc_lo, 5, v17
	v_sub_nc_u32_e32 v16, 0x3f1, v19
	v_lshrrev_b32_e32 v18, 16, v4
	v_or_b32_e32 v17, 0x1000, v5
	v_and_or_b32 v3, 0x8000, v11, v3
	s_or_b32 vcc_lo, s0, vcc_lo
	v_med3_i32 v16, v16, 0, 13
	v_add_co_ci_u32_e32 v12, vcc_lo, 0, v12, vcc_lo
	v_cmp_ne_u32_e32 vcc_lo, 0, v13
	v_mul_f16_sdwa v21, v32, v18 dst_sel:DWORD dst_unused:UNUSED_PAD src0_sel:WORD_1 src1_sel:DWORD
	v_lshrrev_b32_e32 v20, v16, v17
	v_and_b32_e32 v3, 0xffff, v3
	v_cndmask_b32_e64 v13, 0, 1, vcc_lo
	v_cmp_gt_i32_e32 vcc_lo, 31, v15
	v_lshlrev_b32_e32 v11, v16, v20
	v_fmac_f16_e32 v21, v32, v4
	v_and_or_b32 v9, 0x1ff, v10, v9
	v_lshl_or_b32 v13, v13, 9, 0x7c00
	v_cndmask_b32_e32 v12, 0x7c00, v12, vcc_lo
	v_cmp_eq_u32_e32 vcc_lo, 0x40f, v15
	v_add_nc_u32_e32 v16, 0xfffffc10, v19
	v_bfe_u32 v19, v10, 20, 11
	v_mul_f16_sdwa v4, v32, v4 dst_sel:DWORD dst_unused:UNUSED_PAD src0_sel:WORD_1 src1_sel:DWORD
	v_cndmask_b32_e32 v13, v12, v13, vcc_lo
	v_cmp_ne_u32_e32 vcc_lo, v11, v17
	v_cvt_f32_f16_e32 v12, v21
	v_lshrrev_b32_e32 v17, 8, v10
	v_fma_f16 v4, v32, v18, -v4
	v_and_or_b32 v13, 0x8000, v14, v13
	v_cndmask_b32_e64 v15, 0, 1, vcc_lo
	v_cmp_ne_u32_e32 vcc_lo, 0, v9
	v_cvt_f64_f32_e32 v[11:12], v12
	v_lshrrev_b32_e32 v10, 16, v10
	v_lshl_or_b32 v1, v13, 16, v3
	v_or_b32_e32 v14, v20, v15
	v_lshl_or_b32 v15, v16, 12, v5
	v_cndmask_b32_e64 v9, 0, 1, vcc_lo
	v_cmp_gt_i32_e32 vcc_lo, 1, v16
	v_and_or_b32 v9, 0xffe, v17, v9
	v_cndmask_b32_e32 v14, v15, v14, vcc_lo
	v_sub_nc_u32_e32 v15, 0x3f1, v19
	v_add_co_u32 v7, vcc_lo, v7, s7
	v_or_b32_e32 v13, 0x1000, v9
	v_and_b32_e32 v3, 7, v14
	v_med3_i32 v15, v15, 0, 13
	v_add_co_ci_u32_e32 v8, vcc_lo, s6, v8, vcc_lo
	v_cmp_lt_i32_e32 vcc_lo, 5, v3
	v_lshrrev_b32_e32 v17, v15, v13
	v_cmp_eq_u32_e64 s0, 3, v3
	v_mul_f64 v[11:12], v[11:12], s[2:3]
	global_store_dword v[7:8], v1, off
	v_lshrrev_b32_e32 v1, 2, v14
	v_lshlrev_b32_e32 v3, v15, v17
	s_or_b32 vcc_lo, s0, vcc_lo
	v_add_nc_u32_e32 v15, 0xfffffc10, v19
	v_add_co_u32 v7, s1, v7, s5
	v_add_co_ci_u32_e32 v14, vcc_lo, 0, v1, vcc_lo
	v_cmp_ne_u32_e32 vcc_lo, v3, v13
	v_cvt_f32_f16_e32 v3, v4
	ds_read2_b32 v[1:2], v2 offset1:176
	v_add_co_ci_u32_e64 v8, s1, s4, v8, s1
	v_cndmask_b32_e64 v13, 0, 1, vcc_lo
	v_cmp_ne_u32_e32 vcc_lo, 0, v5
	v_cvt_f64_f32_e32 v[3:4], v3
	v_or_b32_e32 v13, v17, v13
	v_cndmask_b32_e64 v5, 0, 1, vcc_lo
	v_cmp_gt_i32_e32 vcc_lo, 31, v16
	v_lshl_or_b32 v17, v15, 12, v9
	v_and_or_b32 v11, 0x1ff, v12, v11
	v_bfe_u32 v18, v12, 20, 11
	v_lshl_or_b32 v5, v5, 9, 0x7c00
	v_cndmask_b32_e32 v14, 0x7c00, v14, vcc_lo
	v_cmp_gt_i32_e32 vcc_lo, 1, v15
	v_cndmask_b32_e32 v13, v17, v13, vcc_lo
	v_cmp_ne_u32_e32 vcc_lo, 0, v11
	v_lshrrev_b32_e32 v17, 8, v12
	v_lshrrev_b32_e32 v12, 16, v12
	v_cndmask_b32_e64 v11, 0, 1, vcc_lo
	v_cmp_eq_u32_e32 vcc_lo, 0x40f, v16
	v_sub_nc_u32_e32 v16, 0x3f1, v18
	v_mul_f64 v[3:4], v[3:4], s[2:3]
	v_and_or_b32 v11, 0xffe, v17, v11
	v_cndmask_b32_e32 v5, v14, v5, vcc_lo
	v_and_b32_e32 v14, 7, v13
	s_waitcnt lgkmcnt(0)
	v_lshrrev_b32_e32 v17, 16, v1
	v_med3_i32 v16, v16, 0, 13
	v_or_b32_e32 v19, 0x1000, v11
	v_cmp_lt_i32_e32 vcc_lo, 5, v14
	v_cmp_eq_u32_e64 s0, 3, v14
	v_and_or_b32 v14, 0x8000, v6, v5
	v_lshrrev_b32_e32 v5, 2, v13
	v_mul_f16_sdwa v20, v31, v17 dst_sel:DWORD dst_unused:UNUSED_PAD src0_sel:WORD_1 src1_sel:DWORD
	v_lshrrev_b32_e32 v13, v16, v19
	s_or_b32 vcc_lo, s0, vcc_lo
	v_and_b32_e32 v14, 0xffff, v14
	v_add_co_ci_u32_e32 v5, vcc_lo, 0, v5, vcc_lo
	v_cmp_ne_u32_e32 vcc_lo, 0, v9
	v_fmac_f16_e32 v20, v31, v1
	v_lshlrev_b32_e32 v16, v16, v13
	v_and_or_b32 v3, 0x1ff, v4, v3
	v_mul_f16_sdwa v1, v31, v1 dst_sel:DWORD dst_unused:UNUSED_PAD src0_sel:WORD_1 src1_sel:DWORD
	v_cndmask_b32_e64 v6, 0, 1, vcc_lo
	v_cmp_gt_i32_e32 vcc_lo, 31, v15
	v_cvt_f32_f16_e32 v9, v20
	v_fma_f16 v1, v31, v17, -v1
	v_lshl_or_b32 v21, v6, 9, 0x7c00
	v_cndmask_b32_e32 v20, 0x7c00, v5, vcc_lo
	v_cmp_ne_u32_e32 vcc_lo, v16, v19
	v_cvt_f64_f32_e32 v[5:6], v9
	v_add_nc_u32_e32 v16, 0xfffffc10, v18
	v_lshrrev_b32_e32 v18, 8, v4
	v_bfe_u32 v19, v4, 20, 11
	v_cndmask_b32_e64 v9, 0, 1, vcc_lo
	v_cmp_eq_u32_e32 vcc_lo, 0x40f, v15
	v_cvt_f32_f16_e32 v1, v1
	v_or_b32_e32 v9, v13, v9
	v_cndmask_b32_e32 v15, v20, v21, vcc_lo
	v_cmp_ne_u32_e32 vcc_lo, 0, v3
	v_lshl_or_b32 v13, v16, 12, v11
	v_and_or_b32 v10, 0x8000, v10, v15
	v_cndmask_b32_e64 v3, 0, 1, vcc_lo
	v_cmp_gt_i32_e32 vcc_lo, 1, v16
	v_lshl_or_b32 v14, v10, 16, v14
	v_and_or_b32 v3, 0xffe, v18, v3
	v_cndmask_b32_e32 v9, v13, v9, vcc_lo
	v_sub_nc_u32_e32 v13, 0x3f1, v19
	v_mul_f64 v[5:6], v[5:6], s[2:3]
	v_or_b32_e32 v18, 0x1000, v3
	v_and_b32_e32 v15, 7, v9
	v_med3_i32 v13, v13, 0, 13
	v_lshrrev_b32_e32 v9, 2, v9
	v_cmp_lt_i32_e32 vcc_lo, 5, v15
	v_cmp_eq_u32_e64 s0, 3, v15
	v_lshrrev_b32_e32 v15, v13, v18
	s_or_b32 vcc_lo, s0, vcc_lo
	v_lshlrev_b32_e32 v10, v13, v15
	v_add_co_ci_u32_e32 v13, vcc_lo, 0, v9, vcc_lo
	v_cmp_ne_u32_e32 vcc_lo, v10, v18
	v_cvt_f64_f32_e32 v[9:10], v1
	v_and_or_b32 v5, 0x1ff, v6, v5
	v_add_nc_u32_e32 v1, 0xfffffc10, v19
	v_lshrrev_b32_e32 v18, 8, v6
	v_cndmask_b32_e64 v17, 0, 1, vcc_lo
	v_cmp_gt_i32_e32 vcc_lo, 31, v16
	v_bfe_u32 v19, v6, 20, 11
	v_or_b32_e32 v15, v15, v17
	v_cndmask_b32_e32 v13, 0x7c00, v13, vcc_lo
	v_cmp_ne_u32_e32 vcc_lo, 0, v5
	v_lshl_or_b32 v17, v1, 12, v3
	v_cndmask_b32_e64 v5, 0, 1, vcc_lo
	v_cmp_ne_u32_e32 vcc_lo, 0, v11
	v_and_or_b32 v5, 0xffe, v18, v5
	v_cndmask_b32_e64 v11, 0, 1, vcc_lo
	v_cmp_gt_i32_e32 vcc_lo, 1, v1
	v_lshrrev_b32_e32 v18, 16, v0
	v_mul_f64 v[9:10], v[9:10], s[2:3]
	v_or_b32_e32 v21, 0x1000, v5
	v_lshl_or_b32 v11, v11, 9, 0x7c00
	v_cndmask_b32_e32 v15, v17, v15, vcc_lo
	v_sub_nc_u32_e32 v17, 0x3f1, v19
	v_cmp_eq_u32_e32 vcc_lo, 0x40f, v16
	v_mul_f16_sdwa v22, v30, v18 dst_sel:DWORD dst_unused:UNUSED_PAD src0_sel:WORD_1 src1_sel:DWORD
	v_add_nc_u32_e32 v19, 0xfffffc10, v19
	v_and_b32_e32 v20, 7, v15
	v_med3_i32 v17, v17, 0, 13
	v_cndmask_b32_e32 v11, v13, v11, vcc_lo
	v_fmac_f16_e32 v22, v30, v0
	v_mul_f16_sdwa v0, v30, v0 dst_sel:DWORD dst_unused:UNUSED_PAD src0_sel:WORD_1 src1_sel:DWORD
	v_cmp_lt_i32_e32 vcc_lo, 5, v20
	v_lshrrev_b32_e32 v13, v17, v21
	v_cmp_eq_u32_e64 s0, 3, v20
	v_and_or_b32 v16, 0x8000, v12, v11
	v_lshrrev_b32_e32 v11, 2, v15
	v_cvt_f32_f16_e32 v15, v22
	v_lshlrev_b32_e32 v12, v17, v13
	s_or_b32 vcc_lo, s0, vcc_lo
	v_fma_f16 v0, v30, v18, -v0
	v_add_co_ci_u32_e32 v17, vcc_lo, 0, v11, vcc_lo
	v_cmp_ne_u32_e32 vcc_lo, v12, v21
	v_cvt_f64_f32_e32 v[11:12], v15
	v_lshl_or_b32 v15, v19, 12, v5
	v_and_or_b32 v9, 0x1ff, v10, v9
	v_cvt_f32_f16_e32 v0, v0
	v_cndmask_b32_e64 v20, 0, 1, vcc_lo
	v_cmp_ne_u32_e32 vcc_lo, 0, v3
	v_lshrrev_b32_e32 v18, 16, v2
	v_or_b32_e32 v13, v13, v20
	v_cndmask_b32_e64 v3, 0, 1, vcc_lo
	v_cmp_gt_i32_e32 vcc_lo, 31, v1
	v_bfe_u32 v20, v10, 20, 11
	v_mul_f16_sdwa v22, v29, v18 dst_sel:DWORD dst_unused:UNUSED_PAD src0_sel:WORD_1 src1_sel:DWORD
	v_lshl_or_b32 v3, v3, 9, 0x7c00
	v_cndmask_b32_e32 v17, 0x7c00, v17, vcc_lo
	v_cmp_gt_i32_e32 vcc_lo, 1, v19
	v_fmac_f16_e32 v22, v29, v2
	v_mul_f16_sdwa v2, v29, v2 dst_sel:DWORD dst_unused:UNUSED_PAD src0_sel:WORD_1 src1_sel:DWORD
	v_cndmask_b32_e32 v13, v15, v13, vcc_lo
	v_cmp_ne_u32_e32 vcc_lo, 0, v9
	v_lshrrev_b32_e32 v15, 8, v10
	v_fma_f16 v2, v29, v18, -v2
	v_and_b32_e32 v21, 7, v13
	v_cndmask_b32_e64 v9, 0, 1, vcc_lo
	v_cmp_eq_u32_e32 vcc_lo, 0x40f, v1
	v_lshrrev_b32_e32 v13, 2, v13
	v_cvt_f32_f16_e32 v2, v2
	v_cmp_eq_u32_e64 s0, 3, v21
	v_and_or_b32 v9, 0xffe, v15, v9
	v_sub_nc_u32_e32 v15, 0x3f1, v20
	v_cndmask_b32_e32 v1, v17, v3, vcc_lo
	v_cmp_lt_i32_e32 vcc_lo, 5, v21
	v_lshrrev_b32_e32 v17, 16, v4
	v_mul_f64 v[3:4], v[11:12], s[2:3]
	v_or_b32_e32 v11, 0x1000, v9
	v_med3_i32 v12, v15, 0, 13
	s_or_b32 vcc_lo, s0, vcc_lo
	v_and_or_b32 v1, 0x8000, v17, v1
	v_add_co_ci_u32_e32 v13, vcc_lo, 0, v13, vcc_lo
	v_and_b32_e32 v15, 0xffff, v16
	v_lshrrev_b32_e32 v16, v12, v11
	v_cmp_ne_u32_e32 vcc_lo, 0, v5
	v_lshl_or_b32 v15, v1, 16, v15
	v_lshlrev_b32_e32 v1, v12, v16
	v_cndmask_b32_e64 v5, 0, 1, vcc_lo
	v_cmp_gt_i32_e32 vcc_lo, 31, v19
	v_lshl_or_b32 v5, v5, 9, 0x7c00
	v_cndmask_b32_e32 v12, 0x7c00, v13, vcc_lo
	v_cmp_ne_u32_e32 vcc_lo, v1, v11
	v_and_or_b32 v3, 0x1ff, v4, v3
	v_add_nc_u32_e32 v13, 0xfffffc10, v20
	v_bfe_u32 v17, v4, 20, 11
	v_cndmask_b32_e64 v1, 0, 1, vcc_lo
	v_cmp_eq_u32_e32 vcc_lo, 0x40f, v19
	v_lshrrev_b32_e32 v19, 16, v6
	v_cndmask_b32_e32 v11, v12, v5, vcc_lo
	v_cmp_ne_u32_e32 vcc_lo, 0, v3
	v_or_b32_e32 v5, v16, v1
	v_lshrrev_b32_e32 v16, 8, v4
	v_lshl_or_b32 v12, v13, 12, v9
	v_cvt_f64_f32_e32 v[0:1], v0
	v_cndmask_b32_e64 v3, 0, 1, vcc_lo
	v_cmp_gt_i32_e32 vcc_lo, 1, v13
	v_and_or_b32 v19, 0x8000, v19, v11
	v_lshrrev_b32_e32 v4, 16, v4
	v_and_or_b32 v16, 0xffe, v16, v3
	v_sub_nc_u32_e32 v3, 0x3f1, v17
	v_cndmask_b32_e32 v12, v12, v5, vcc_lo
	v_add_co_u32 v5, vcc_lo, v7, s7
	v_or_b32_e32 v21, 0x1000, v16
	v_med3_i32 v3, v3, 0, 13
	v_and_b32_e32 v20, 7, v12
	v_add_co_ci_u32_e32 v6, vcc_lo, s6, v8, vcc_lo
	v_lshrrev_b32_e32 v11, 2, v12
	v_lshrrev_b32_e32 v23, v3, v21
	v_cmp_lt_i32_e32 vcc_lo, 5, v20
	v_cmp_eq_u32_e64 s0, 3, v20
	v_cvt_f32_f16_e32 v12, v22
	v_add_nc_u32_e32 v17, 0xfffffc10, v17
	v_lshlrev_b32_e32 v3, v3, v23
	v_mul_f64 v[0:1], v[0:1], s[2:3]
	s_or_b32 vcc_lo, s0, vcc_lo
	v_add_co_ci_u32_e32 v20, vcc_lo, 0, v11, vcc_lo
	v_cmp_ne_u32_e32 vcc_lo, v3, v21
	v_cvt_f64_f32_e32 v[11:12], v12
	v_lshl_or_b32 v21, v17, 12, v16
	v_cndmask_b32_e64 v3, 0, 1, vcc_lo
	v_cmp_ne_u32_e32 vcc_lo, 0, v9
	v_or_b32_e32 v3, v23, v3
	v_cndmask_b32_e64 v9, 0, 1, vcc_lo
	v_cmp_gt_i32_e32 vcc_lo, 31, v13
	v_lshl_or_b32 v9, v9, 9, 0x7c00
	v_cndmask_b32_e32 v18, 0x7c00, v20, vcc_lo
	v_cmp_gt_i32_e32 vcc_lo, 1, v17
	v_and_or_b32 v0, 0x1ff, v1, v0
	v_cndmask_b32_e32 v20, v21, v3, vcc_lo
	v_cmp_eq_u32_e32 vcc_lo, 0x40f, v13
	v_cvt_f64_f32_e32 v[2:3], v2
	v_and_b32_e32 v21, 7, v20
	v_cndmask_b32_e32 v13, v18, v9, vcc_lo
	v_lshrrev_b32_e32 v18, 16, v10
	v_mul_f64 v[9:10], v[11:12], s[2:3]
	v_cmp_ne_u32_e32 vcc_lo, 0, v0
	v_lshrrev_b32_e32 v11, 8, v1
	v_bfe_u32 v12, v1, 20, 11
	v_and_or_b32 v13, 0x8000, v18, v13
	v_and_b32_e32 v18, 0xffff, v19
	v_cndmask_b32_e64 v0, 0, 1, vcc_lo
	v_cmp_lt_i32_e32 vcc_lo, 5, v21
	v_cmp_eq_u32_e64 s0, 3, v21
	v_lshrrev_b32_e32 v1, 16, v1
	v_lshl_or_b32 v13, v13, 16, v18
	v_lshrrev_b32_e32 v18, 2, v20
	v_and_or_b32 v0, 0xffe, v11, v0
	v_sub_nc_u32_e32 v11, 0x3f1, v12
	s_or_b32 vcc_lo, s0, vcc_lo
	v_add_nc_u32_e32 v12, 0xfffffc10, v12
	v_add_co_ci_u32_e32 v18, vcc_lo, 0, v18, vcc_lo
	v_or_b32_e32 v19, 0x1000, v0
	v_med3_i32 v11, v11, 0, 13
	v_cmp_ne_u32_e32 vcc_lo, 0, v16
	v_mul_f64 v[2:3], v[2:3], s[2:3]
	v_and_or_b32 v9, 0x1ff, v10, v9
	v_lshrrev_b32_e32 v21, 8, v10
	v_lshrrev_b32_e32 v20, v11, v19
	v_cndmask_b32_e64 v16, 0, 1, vcc_lo
	v_cmp_gt_i32_e32 vcc_lo, 31, v17
	v_bfe_u32 v22, v10, 20, 11
	v_lshrrev_b32_e32 v10, 16, v10
	v_lshlrev_b32_e32 v11, v11, v20
	v_lshl_or_b32 v16, v16, 9, 0x7c00
	v_cndmask_b32_e32 v18, 0x7c00, v18, vcc_lo
	v_cmp_ne_u32_e32 vcc_lo, 0, v9
	v_cndmask_b32_e64 v9, 0, 1, vcc_lo
	v_cmp_ne_u32_e32 vcc_lo, v11, v19
	v_sub_nc_u32_e32 v19, 0x3f1, v22
	v_and_or_b32 v9, 0xffe, v21, v9
	v_cndmask_b32_e64 v11, 0, 1, vcc_lo
	v_cmp_eq_u32_e32 vcc_lo, 0x40f, v17
	v_lshl_or_b32 v17, v12, 12, v0
	v_med3_i32 v19, v19, 0, 13
	v_and_or_b32 v2, 0x1ff, v3, v2
	v_or_b32_e32 v11, v20, v11
	v_cndmask_b32_e32 v16, v18, v16, vcc_lo
	v_or_b32_e32 v18, 0x1000, v9
	v_cmp_gt_i32_e32 vcc_lo, 1, v12
	v_lshrrev_b32_e32 v20, 8, v3
	v_bfe_u32 v21, v3, 20, 11
	v_and_or_b32 v4, 0x8000, v4, v16
	v_lshrrev_b32_e32 v3, 16, v3
	v_cndmask_b32_e32 v11, v17, v11, vcc_lo
	v_lshrrev_b32_e32 v17, v19, v18
	v_cmp_ne_u32_e32 vcc_lo, 0, v2
	v_sub_nc_u32_e32 v16, 0x3f1, v21
	v_and_b32_e32 v4, 0xffff, v4
	v_and_b32_e32 v23, 7, v11
	v_lshlrev_b32_e32 v19, v19, v17
	v_cndmask_b32_e64 v2, 0, 1, vcc_lo
	v_lshrrev_b32_e32 v11, 2, v11
	v_med3_i32 v16, v16, 0, 13
	v_cmp_lt_i32_e32 vcc_lo, 5, v23
	v_cmp_ne_u32_e64 s0, v19, v18
	v_and_or_b32 v2, 0xffe, v20, v2
	v_add_nc_u32_e32 v20, 0xfffffc10, v22
	v_cndmask_b32_e64 v18, 0, 1, s0
	v_cmp_eq_u32_e64 s0, 3, v23
	v_or_b32_e32 v19, 0x1000, v2
	v_lshl_or_b32 v22, v20, 12, v9
	v_or_b32_e32 v17, v17, v18
	s_or_b32 vcc_lo, s0, vcc_lo
	v_lshrrev_b32_e32 v18, v16, v19
	v_add_co_ci_u32_e32 v11, vcc_lo, 0, v11, vcc_lo
	v_cmp_gt_i32_e32 vcc_lo, 1, v20
	v_lshlrev_b32_e32 v16, v16, v18
	v_cndmask_b32_e32 v17, v22, v17, vcc_lo
	v_cmp_ne_u32_e32 vcc_lo, 0, v0
	v_cndmask_b32_e64 v0, 0, 1, vcc_lo
	v_cmp_ne_u32_e32 vcc_lo, v16, v19
	v_add_nc_u32_e32 v19, 0xfffffc10, v21
	v_and_b32_e32 v21, 7, v17
	v_lshl_or_b32 v0, v0, 9, 0x7c00
	v_cndmask_b32_e64 v16, 0, 1, vcc_lo
	v_cmp_gt_i32_e32 vcc_lo, 31, v12
	v_cmp_gt_i32_e64 s1, 1, v19
	v_cmp_eq_u32_e64 s0, 3, v21
	v_or_b32_e32 v16, v18, v16
	v_lshl_or_b32 v18, v19, 12, v2
	v_cndmask_b32_e32 v11, 0x7c00, v11, vcc_lo
	v_cmp_lt_i32_e32 vcc_lo, 5, v21
	v_cndmask_b32_e64 v16, v18, v16, s1
	v_cmp_eq_u32_e64 s1, 0x40f, v12
	s_or_b32 vcc_lo, s0, vcc_lo
	v_and_b32_e32 v12, 7, v16
	v_cndmask_b32_e64 v0, v11, v0, s1
	v_lshrrev_b32_e32 v11, 2, v17
	v_cmp_gt_i32_e64 s1, 31, v20
	v_cmp_eq_u32_e64 s0, 3, v12
	v_add_co_ci_u32_e32 v11, vcc_lo, 0, v11, vcc_lo
	v_cmp_ne_u32_e32 vcc_lo, 0, v9
	v_cndmask_b32_e64 v11, 0x7c00, v11, s1
	v_cndmask_b32_e64 v9, 0, 1, vcc_lo
	v_cmp_lt_i32_e32 vcc_lo, 5, v12
	v_lshrrev_b32_e32 v12, 2, v16
	v_lshl_or_b32 v9, v9, 9, 0x7c00
	s_or_b32 vcc_lo, s0, vcc_lo
	v_add_co_ci_u32_e32 v12, vcc_lo, 0, v12, vcc_lo
	v_cmp_ne_u32_e32 vcc_lo, 0, v2
	v_cndmask_b32_e64 v2, 0, 1, vcc_lo
	v_cmp_eq_u32_e32 vcc_lo, 0x40f, v20
	v_lshl_or_b32 v2, v2, 9, 0x7c00
	v_cndmask_b32_e32 v9, v11, v9, vcc_lo
	v_cmp_gt_i32_e32 vcc_lo, 31, v19
	v_and_or_b32 v9, 0x8000, v10, v9
	v_cndmask_b32_e32 v11, 0x7c00, v12, vcc_lo
	v_cmp_eq_u32_e32 vcc_lo, 0x40f, v19
	v_and_or_b32 v12, 0x8000, v1, v0
	v_and_b32_e32 v9, 0xffff, v9
	v_cndmask_b32_e32 v2, v11, v2, vcc_lo
	v_add_co_u32 v0, vcc_lo, v5, s5
	v_add_co_ci_u32_e32 v1, vcc_lo, s4, v6, vcc_lo
	v_and_or_b32 v10, 0x8000, v3, v2
	v_add_co_u32 v2, vcc_lo, v0, s7
	v_add_co_ci_u32_e32 v3, vcc_lo, s6, v1, vcc_lo
	v_lshl_or_b32 v11, v10, 16, v9
	v_add_co_u32 v9, vcc_lo, v2, s5
	v_lshl_or_b32 v4, v12, 16, v4
	v_add_co_ci_u32_e32 v10, vcc_lo, s4, v3, vcc_lo
	global_store_dword v[7:8], v14, off
	global_store_dword v[5:6], v15, off
	;; [unrolled: 1-line block ×5, first 2 shown]
.LBB0_10:
	s_endpgm
	.section	.rodata,"a",@progbits
	.p2align	6, 0x0
	.amdhsa_kernel bluestein_single_fwd_len1760_dim1_half_op_CI_CI
		.amdhsa_group_segment_fixed_size 7040
		.amdhsa_private_segment_fixed_size 0
		.amdhsa_kernarg_size 104
		.amdhsa_user_sgpr_count 6
		.amdhsa_user_sgpr_private_segment_buffer 1
		.amdhsa_user_sgpr_dispatch_ptr 0
		.amdhsa_user_sgpr_queue_ptr 0
		.amdhsa_user_sgpr_kernarg_segment_ptr 1
		.amdhsa_user_sgpr_dispatch_id 0
		.amdhsa_user_sgpr_flat_scratch_init 0
		.amdhsa_user_sgpr_private_segment_size 0
		.amdhsa_wavefront_size32 1
		.amdhsa_uses_dynamic_stack 0
		.amdhsa_system_sgpr_private_segment_wavefront_offset 0
		.amdhsa_system_sgpr_workgroup_id_x 1
		.amdhsa_system_sgpr_workgroup_id_y 0
		.amdhsa_system_sgpr_workgroup_id_z 0
		.amdhsa_system_sgpr_workgroup_info 0
		.amdhsa_system_vgpr_workitem_id 0
		.amdhsa_next_free_vgpr 159
		.amdhsa_next_free_sgpr 20
		.amdhsa_reserve_vcc 1
		.amdhsa_reserve_flat_scratch 0
		.amdhsa_float_round_mode_32 0
		.amdhsa_float_round_mode_16_64 0
		.amdhsa_float_denorm_mode_32 3
		.amdhsa_float_denorm_mode_16_64 3
		.amdhsa_dx10_clamp 1
		.amdhsa_ieee_mode 1
		.amdhsa_fp16_overflow 0
		.amdhsa_workgroup_processor_mode 1
		.amdhsa_memory_ordered 1
		.amdhsa_forward_progress 0
		.amdhsa_shared_vgpr_count 0
		.amdhsa_exception_fp_ieee_invalid_op 0
		.amdhsa_exception_fp_denorm_src 0
		.amdhsa_exception_fp_ieee_div_zero 0
		.amdhsa_exception_fp_ieee_overflow 0
		.amdhsa_exception_fp_ieee_underflow 0
		.amdhsa_exception_fp_ieee_inexact 0
		.amdhsa_exception_int_div_zero 0
	.end_amdhsa_kernel
	.text
.Lfunc_end0:
	.size	bluestein_single_fwd_len1760_dim1_half_op_CI_CI, .Lfunc_end0-bluestein_single_fwd_len1760_dim1_half_op_CI_CI
                                        ; -- End function
	.section	.AMDGPU.csdata,"",@progbits
; Kernel info:
; codeLenInByte = 19804
; NumSgprs: 22
; NumVgprs: 159
; ScratchSize: 0
; MemoryBound: 0
; FloatMode: 240
; IeeeMode: 1
; LDSByteSize: 7040 bytes/workgroup (compile time only)
; SGPRBlocks: 2
; VGPRBlocks: 19
; NumSGPRsForWavesPerEU: 22
; NumVGPRsForWavesPerEU: 159
; Occupancy: 6
; WaveLimiterHint : 1
; COMPUTE_PGM_RSRC2:SCRATCH_EN: 0
; COMPUTE_PGM_RSRC2:USER_SGPR: 6
; COMPUTE_PGM_RSRC2:TRAP_HANDLER: 0
; COMPUTE_PGM_RSRC2:TGID_X_EN: 1
; COMPUTE_PGM_RSRC2:TGID_Y_EN: 0
; COMPUTE_PGM_RSRC2:TGID_Z_EN: 0
; COMPUTE_PGM_RSRC2:TIDIG_COMP_CNT: 0
	.text
	.p2alignl 6, 3214868480
	.fill 48, 4, 3214868480
	.type	__hip_cuid_d237eb32854ab247,@object ; @__hip_cuid_d237eb32854ab247
	.section	.bss,"aw",@nobits
	.globl	__hip_cuid_d237eb32854ab247
__hip_cuid_d237eb32854ab247:
	.byte	0                               ; 0x0
	.size	__hip_cuid_d237eb32854ab247, 1

	.ident	"AMD clang version 19.0.0git (https://github.com/RadeonOpenCompute/llvm-project roc-6.4.0 25133 c7fe45cf4b819c5991fe208aaa96edf142730f1d)"
	.section	".note.GNU-stack","",@progbits
	.addrsig
	.addrsig_sym __hip_cuid_d237eb32854ab247
	.amdgpu_metadata
---
amdhsa.kernels:
  - .args:
      - .actual_access:  read_only
        .address_space:  global
        .offset:         0
        .size:           8
        .value_kind:     global_buffer
      - .actual_access:  read_only
        .address_space:  global
        .offset:         8
        .size:           8
        .value_kind:     global_buffer
      - .actual_access:  read_only
        .address_space:  global
        .offset:         16
        .size:           8
        .value_kind:     global_buffer
      - .actual_access:  read_only
        .address_space:  global
        .offset:         24
        .size:           8
        .value_kind:     global_buffer
      - .actual_access:  read_only
        .address_space:  global
        .offset:         32
        .size:           8
        .value_kind:     global_buffer
      - .offset:         40
        .size:           8
        .value_kind:     by_value
      - .address_space:  global
        .offset:         48
        .size:           8
        .value_kind:     global_buffer
      - .address_space:  global
        .offset:         56
        .size:           8
        .value_kind:     global_buffer
      - .address_space:  global
        .offset:         64
        .size:           8
        .value_kind:     global_buffer
      - .address_space:  global
        .offset:         72
        .size:           8
        .value_kind:     global_buffer
      - .offset:         80
        .size:           4
        .value_kind:     by_value
      - .address_space:  global
        .offset:         88
        .size:           8
        .value_kind:     global_buffer
      - .address_space:  global
        .offset:         96
        .size:           8
        .value_kind:     global_buffer
    .group_segment_fixed_size: 7040
    .kernarg_segment_align: 8
    .kernarg_segment_size: 104
    .language:       OpenCL C
    .language_version:
      - 2
      - 0
    .max_flat_workgroup_size: 176
    .name:           bluestein_single_fwd_len1760_dim1_half_op_CI_CI
    .private_segment_fixed_size: 0
    .sgpr_count:     22
    .sgpr_spill_count: 0
    .symbol:         bluestein_single_fwd_len1760_dim1_half_op_CI_CI.kd
    .uniform_work_group_size: 1
    .uses_dynamic_stack: false
    .vgpr_count:     159
    .vgpr_spill_count: 0
    .wavefront_size: 32
    .workgroup_processor_mode: 1
amdhsa.target:   amdgcn-amd-amdhsa--gfx1030
amdhsa.version:
  - 1
  - 2
...

	.end_amdgpu_metadata
